;; amdgpu-corpus repo=ROCm/rocFFT kind=compiled arch=gfx1030 opt=O3
	.text
	.amdgcn_target "amdgcn-amd-amdhsa--gfx1030"
	.amdhsa_code_object_version 6
	.protected	fft_rtc_back_len289_factors_17_17_wgs_119_tpt_17_dp_ip_CI_sbcc_twdbase8_3step_dirReg ; -- Begin function fft_rtc_back_len289_factors_17_17_wgs_119_tpt_17_dp_ip_CI_sbcc_twdbase8_3step_dirReg
	.globl	fft_rtc_back_len289_factors_17_17_wgs_119_tpt_17_dp_ip_CI_sbcc_twdbase8_3step_dirReg
	.p2align	8
	.type	fft_rtc_back_len289_factors_17_17_wgs_119_tpt_17_dp_ip_CI_sbcc_twdbase8_3step_dirReg,@function
fft_rtc_back_len289_factors_17_17_wgs_119_tpt_17_dp_ip_CI_sbcc_twdbase8_3step_dirReg: ; @fft_rtc_back_len289_factors_17_17_wgs_119_tpt_17_dp_ip_CI_sbcc_twdbase8_3step_dirReg
; %bb.0:
	s_load_dwordx4 s[12:15], s[4:5], 0x18
	s_mov_b64 s[66:67], s[2:3]
	s_mov_b64 s[64:65], s[0:1]
	v_mov_b32_e32 v255, v0
	s_add_u32 s64, s64, s7
	s_addc_u32 s65, s65, 0
	s_mov_b64 s[20:21], 0
	s_waitcnt lgkmcnt(0)
	s_load_dwordx2 s[16:17], s[12:13], 0x8
	s_waitcnt lgkmcnt(0)
	s_add_u32 s0, s16, -1
	s_addc_u32 s1, s17, -1
	s_add_u32 s2, 0, 0x92481000
	s_addc_u32 s3, 0, 0x64
	s_mul_hi_u32 s8, s2, -7
	s_add_i32 s3, s3, 0x249248c0
	s_sub_i32 s8, s8, s2
	s_mul_i32 s10, s3, -7
	s_mul_i32 s7, s2, -7
	s_add_i32 s8, s8, s10
	s_mul_hi_u32 s9, s2, s7
	s_mul_i32 s18, s2, s8
	s_mul_hi_u32 s10, s2, s8
	s_mul_hi_u32 s11, s3, s7
	s_mul_i32 s7, s3, s7
	s_add_u32 s9, s9, s18
	s_addc_u32 s10, 0, s10
	s_mul_hi_u32 s19, s3, s8
	s_add_u32 s7, s9, s7
	s_mul_i32 s8, s3, s8
	s_addc_u32 s7, s10, s11
	s_addc_u32 s9, s19, 0
	s_add_u32 s7, s7, s8
	v_add_co_u32 v0, s2, s2, s7
	s_addc_u32 s7, 0, s9
	s_cmp_lg_u32 s2, 0
	s_addc_u32 s2, s3, s7
	v_readfirstlane_b32 s3, v0
	s_mul_i32 s8, s0, s2
	s_mul_hi_u32 s7, s0, s2
	s_mul_hi_u32 s9, s1, s2
	s_mul_i32 s2, s1, s2
	s_mul_hi_u32 s10, s0, s3
	s_mul_hi_u32 s11, s1, s3
	s_mul_i32 s3, s1, s3
	s_add_u32 s8, s10, s8
	s_addc_u32 s7, 0, s7
	s_add_u32 s3, s8, s3
	s_addc_u32 s3, s7, s11
	s_addc_u32 s7, s9, 0
	s_add_u32 s2, s3, s2
	s_addc_u32 s3, 0, s7
	s_mul_i32 s8, s2, 7
	s_add_u32 s7, s2, 1
	v_sub_co_u32 v0, s0, s0, s8
	s_mul_hi_u32 s8, s2, 7
	s_addc_u32 s9, s3, 0
	s_mul_i32 s10, s3, 7
	v_sub_co_u32 v1, s11, v0, 7
	s_add_u32 s18, s2, 2
	s_addc_u32 s19, s3, 0
	s_add_i32 s8, s8, s10
	s_cmp_lg_u32 s0, 0
	v_readfirstlane_b32 s0, v1
	s_subb_u32 s1, s1, s8
	s_cmp_lg_u32 s11, 0
	s_subb_u32 s8, s1, 0
	s_cmp_gt_u32 s0, 6
	s_cselect_b32 s0, -1, 0
	s_cmp_eq_u32 s8, 0
	v_readfirstlane_b32 s8, v0
	s_cselect_b32 s0, s0, -1
	s_cmp_lg_u32 s0, 0
	s_cselect_b32 s0, s18, s7
	s_cselect_b32 s9, s19, s9
	s_cmp_gt_u32 s8, 6
	s_cselect_b32 s7, -1, 0
	s_cmp_eq_u32 s1, 0
	s_cselect_b32 s1, s7, -1
	s_mov_b32 s7, 0
	s_cmp_lg_u32 s1, 0
	s_cselect_b32 s0, s0, s2
	s_cselect_b32 s1, s9, s3
	s_add_u32 s18, s0, 1
	s_addc_u32 s19, s1, 0
	v_cmp_lt_u64_e64 s0, s[6:7], s[18:19]
	s_and_b32 vcc_lo, exec_lo, s0
	s_cbranch_vccnz .LBB0_2
; %bb.1:
	v_cvt_f32_u32_e32 v0, s18
	s_sub_i32 s1, 0, s18
	s_mov_b32 s21, s7
	v_rcp_iflag_f32_e32 v0, v0
	v_mul_f32_e32 v0, 0x4f7ffffe, v0
	v_cvt_u32_f32_e32 v0, v0
	v_readfirstlane_b32 s0, v0
	s_mul_i32 s1, s1, s0
	s_mul_hi_u32 s1, s0, s1
	s_add_i32 s0, s0, s1
	s_mul_hi_u32 s0, s6, s0
	s_mul_i32 s1, s0, s18
	s_add_i32 s2, s0, 1
	s_sub_i32 s1, s6, s1
	s_sub_i32 s3, s1, s18
	s_cmp_ge_u32 s1, s18
	s_cselect_b32 s0, s2, s0
	s_cselect_b32 s1, s3, s1
	s_add_i32 s2, s0, 1
	s_cmp_ge_u32 s1, s18
	s_cselect_b32 s20, s2, s0
.LBB0_2:
	s_load_dwordx4 s[0:3], s[14:15], 0x0
	s_clause 0x2
	s_load_dwordx4 s[8:11], s[4:5], 0x8
	s_load_dwordx2 s[60:61], s[4:5], 0x0
	s_load_dwordx2 s[4:5], s[4:5], 0x58
	s_mul_i32 s22, s20, s19
	s_mul_hi_u32 s23, s20, s18
	s_mul_i32 s24, s20, s18
	s_add_i32 s23, s23, s22
	s_sub_u32 s34, s6, s24
	s_subb_u32 s22, 0, s23
	s_mul_hi_u32 s33, s34, 7
	s_mul_i32 s22, s22, 7
	s_mul_i32 s34, s34, 7
	s_add_i32 s33, s33, s22
	s_waitcnt lgkmcnt(0)
	s_mul_i32 s22, s2, s33
	v_cmp_lt_u64_e64 s24, s[10:11], 3
	s_mul_hi_u32 s23, s2, s34
	s_mul_i32 s36, s2, s34
	s_add_i32 s22, s23, s22
	s_mul_i32 s23, s3, s34
	s_add_i32 s35, s22, s23
	s_and_b32 vcc_lo, exec_lo, s24
	s_cbranch_vccnz .LBB0_12
; %bb.3:
	s_add_u32 s22, s14, 16
	s_addc_u32 s23, s15, 0
	s_add_u32 s12, s12, 16
	s_addc_u32 s13, s13, 0
	s_mov_b64 s[24:25], 2
	s_mov_b32 s26, 0
.LBB0_4:                                ; =>This Inner Loop Header: Depth=1
	s_load_dwordx2 s[28:29], s[12:13], 0x0
	s_waitcnt lgkmcnt(0)
	s_or_b64 s[30:31], s[20:21], s[28:29]
	s_mov_b32 s27, s31
                                        ; implicit-def: $sgpr30_sgpr31
	s_cmp_lg_u64 s[26:27], 0
	s_mov_b32 s27, -1
	s_cbranch_scc0 .LBB0_6
; %bb.5:                                ;   in Loop: Header=BB0_4 Depth=1
	v_cvt_f32_u32_e32 v0, s28
	v_cvt_f32_u32_e32 v1, s29
	s_sub_u32 s31, 0, s28
	s_subb_u32 s37, 0, s29
	v_fmac_f32_e32 v0, 0x4f800000, v1
	v_rcp_f32_e32 v0, v0
	v_mul_f32_e32 v0, 0x5f7ffffc, v0
	v_mul_f32_e32 v1, 0x2f800000, v0
	v_trunc_f32_e32 v1, v1
	v_fmac_f32_e32 v0, 0xcf800000, v1
	v_cvt_u32_f32_e32 v1, v1
	v_cvt_u32_f32_e32 v0, v0
	v_readfirstlane_b32 s27, v1
	v_readfirstlane_b32 s30, v0
	s_mul_i32 s38, s31, s27
	s_mul_hi_u32 s40, s31, s30
	s_mul_i32 s39, s37, s30
	s_add_i32 s38, s40, s38
	s_mul_i32 s41, s31, s30
	s_add_i32 s38, s38, s39
	s_mul_hi_u32 s40, s30, s41
	s_mul_hi_u32 s42, s27, s41
	s_mul_i32 s39, s27, s41
	s_mul_hi_u32 s41, s30, s38
	s_mul_i32 s30, s30, s38
	s_mul_hi_u32 s43, s27, s38
	s_add_u32 s30, s40, s30
	s_addc_u32 s40, 0, s41
	s_add_u32 s30, s30, s39
	s_mul_i32 s38, s27, s38
	s_addc_u32 s30, s40, s42
	s_addc_u32 s39, s43, 0
	s_add_u32 s30, s30, s38
	s_addc_u32 s38, 0, s39
	v_add_co_u32 v0, s30, v0, s30
	s_cmp_lg_u32 s30, 0
	s_addc_u32 s27, s27, s38
	v_readfirstlane_b32 s30, v0
	s_mul_i32 s38, s31, s27
	s_mul_hi_u32 s39, s31, s30
	s_mul_i32 s37, s37, s30
	s_add_i32 s38, s39, s38
	s_mul_i32 s31, s31, s30
	s_add_i32 s38, s38, s37
	s_mul_hi_u32 s39, s27, s31
	s_mul_i32 s40, s27, s31
	s_mul_hi_u32 s31, s30, s31
	s_mul_hi_u32 s41, s30, s38
	s_mul_i32 s30, s30, s38
	s_mul_hi_u32 s37, s27, s38
	s_add_u32 s30, s31, s30
	s_addc_u32 s31, 0, s41
	s_add_u32 s30, s30, s40
	s_mul_i32 s38, s27, s38
	s_addc_u32 s30, s31, s39
	s_addc_u32 s31, s37, 0
	s_add_u32 s30, s30, s38
	s_addc_u32 s31, 0, s31
	v_add_co_u32 v0, s30, v0, s30
	s_cmp_lg_u32 s30, 0
	s_addc_u32 s27, s27, s31
	v_readfirstlane_b32 s30, v0
	s_mul_i32 s37, s20, s27
	s_mul_hi_u32 s31, s20, s27
	s_mul_hi_u32 s38, s21, s27
	s_mul_i32 s27, s21, s27
	s_mul_hi_u32 s39, s20, s30
	s_mul_hi_u32 s40, s21, s30
	s_mul_i32 s30, s21, s30
	s_add_u32 s37, s39, s37
	s_addc_u32 s31, 0, s31
	s_add_u32 s30, s37, s30
	s_addc_u32 s30, s31, s40
	s_addc_u32 s31, s38, 0
	s_add_u32 s30, s30, s27
	s_addc_u32 s31, 0, s31
	s_mul_hi_u32 s27, s28, s30
	s_mul_i32 s38, s28, s31
	s_mul_i32 s39, s28, s30
	s_add_i32 s27, s27, s38
	v_sub_co_u32 v0, s38, s20, s39
	s_mul_i32 s37, s29, s30
	s_add_i32 s27, s27, s37
	v_sub_co_u32 v1, s39, v0, s28
	s_sub_i32 s37, s21, s27
	s_cmp_lg_u32 s38, 0
	s_subb_u32 s37, s37, s29
	s_cmp_lg_u32 s39, 0
	v_readfirstlane_b32 s39, v1
	s_subb_u32 s37, s37, 0
	s_cmp_ge_u32 s37, s29
	s_cselect_b32 s40, -1, 0
	s_cmp_ge_u32 s39, s28
	s_cselect_b32 s39, -1, 0
	s_cmp_eq_u32 s37, s29
	s_cselect_b32 s37, s39, s40
	s_add_u32 s39, s30, 1
	s_addc_u32 s40, s31, 0
	s_add_u32 s41, s30, 2
	s_addc_u32 s42, s31, 0
	s_cmp_lg_u32 s37, 0
	s_cselect_b32 s37, s41, s39
	s_cselect_b32 s39, s42, s40
	s_cmp_lg_u32 s38, 0
	v_readfirstlane_b32 s38, v0
	s_subb_u32 s27, s21, s27
	s_cmp_ge_u32 s27, s29
	s_cselect_b32 s40, -1, 0
	s_cmp_ge_u32 s38, s28
	s_cselect_b32 s38, -1, 0
	s_cmp_eq_u32 s27, s29
	s_cselect_b32 s27, s38, s40
	s_cmp_lg_u32 s27, 0
	s_mov_b32 s27, 0
	s_cselect_b32 s31, s39, s31
	s_cselect_b32 s30, s37, s30
.LBB0_6:                                ;   in Loop: Header=BB0_4 Depth=1
	s_andn2_b32 vcc_lo, exec_lo, s27
	s_cbranch_vccnz .LBB0_8
; %bb.7:                                ;   in Loop: Header=BB0_4 Depth=1
	v_cvt_f32_u32_e32 v0, s28
	s_sub_i32 s30, 0, s28
	v_rcp_iflag_f32_e32 v0, v0
	v_mul_f32_e32 v0, 0x4f7ffffe, v0
	v_cvt_u32_f32_e32 v0, v0
	v_readfirstlane_b32 s27, v0
	s_mul_i32 s30, s30, s27
	s_mul_hi_u32 s30, s27, s30
	s_add_i32 s27, s27, s30
	s_mul_hi_u32 s27, s20, s27
	s_mul_i32 s30, s27, s28
	s_add_i32 s31, s27, 1
	s_sub_i32 s30, s20, s30
	s_sub_i32 s37, s30, s28
	s_cmp_ge_u32 s30, s28
	s_cselect_b32 s27, s31, s27
	s_cselect_b32 s30, s37, s30
	s_add_i32 s31, s27, 1
	s_cmp_ge_u32 s30, s28
	s_cselect_b32 s30, s31, s27
	s_mov_b32 s31, s26
.LBB0_8:                                ;   in Loop: Header=BB0_4 Depth=1
	s_load_dwordx2 s[38:39], s[22:23], 0x0
	s_mul_i32 s19, s28, s19
	s_mul_hi_u32 s27, s28, s18
	s_mul_i32 s37, s29, s18
	s_mul_i32 s29, s30, s29
	s_mul_hi_u32 s40, s30, s28
	s_mul_i32 s41, s31, s28
	s_add_i32 s19, s27, s19
	s_add_i32 s27, s40, s29
	s_mul_i32 s42, s30, s28
	s_add_i32 s19, s19, s37
	s_add_i32 s27, s27, s41
	s_sub_u32 s20, s20, s42
	s_subb_u32 s21, s21, s27
	s_mul_i32 s18, s28, s18
	s_waitcnt lgkmcnt(0)
	s_mul_i32 s21, s38, s21
	s_mul_hi_u32 s27, s38, s20
	s_add_i32 s21, s27, s21
	s_mul_i32 s27, s39, s20
	s_mul_i32 s20, s38, s20
	s_add_i32 s21, s21, s27
	s_add_u32 s36, s20, s36
	s_addc_u32 s35, s21, s35
	s_add_u32 s24, s24, 1
	s_addc_u32 s25, s25, 0
	s_add_u32 s22, s22, 8
	v_cmp_ge_u64_e64 s20, s[24:25], s[10:11]
	s_addc_u32 s23, s23, 0
	s_add_u32 s12, s12, 8
	s_addc_u32 s13, s13, 0
	s_and_b32 vcc_lo, exec_lo, s20
	s_cbranch_vccnz .LBB0_10
; %bb.9:                                ;   in Loop: Header=BB0_4 Depth=1
	s_mov_b64 s[20:21], s[30:31]
	s_branch .LBB0_4
.LBB0_10:
	v_cmp_lt_u64_e64 s7, s[6:7], s[18:19]
	s_mov_b64 s[20:21], 0
	s_and_b32 vcc_lo, exec_lo, s7
	s_cbranch_vccnz .LBB0_12
; %bb.11:
	v_cvt_f32_u32_e32 v0, s18
	s_sub_i32 s12, 0, s18
	v_rcp_iflag_f32_e32 v0, v0
	v_mul_f32_e32 v0, 0x4f7ffffe, v0
	v_cvt_u32_f32_e32 v0, v0
	v_readfirstlane_b32 s7, v0
	s_mul_i32 s12, s12, s7
	s_mul_hi_u32 s12, s7, s12
	s_add_i32 s7, s7, s12
	s_mul_hi_u32 s7, s6, s7
	s_mul_i32 s12, s7, s18
	s_sub_i32 s6, s6, s12
	s_add_i32 s12, s7, 1
	s_sub_i32 s13, s6, s18
	s_cmp_ge_u32 s6, s18
	s_cselect_b32 s7, s12, s7
	s_cselect_b32 s6, s13, s6
	s_add_i32 s12, s7, 1
	s_cmp_ge_u32 s6, s18
	s_cselect_b32 s20, s12, s7
.LBB0_12:
	s_lshl_b64 s[6:7], s[10:11], 3
	v_mul_u32_u24_e32 v0, 0x2493, v255
	s_add_u32 s6, s14, s6
	s_addc_u32 s7, s15, s7
                                        ; kill: def $vgpr1_vgpr2 killed $sgpr0_sgpr1 killed $exec
                                        ; implicit-def: $vgpr116_vgpr117
                                        ; implicit-def: $vgpr11_vgpr12
                                        ; implicit-def: $vgpr15_vgpr16
                                        ; implicit-def: $vgpr19_vgpr20
                                        ; implicit-def: $vgpr23_vgpr24
                                        ; implicit-def: $vgpr27_vgpr28
                                        ; implicit-def: $vgpr35_vgpr36
                                        ; implicit-def: $vgpr39_vgpr40
                                        ; implicit-def: $vgpr43_vgpr44
                                        ; implicit-def: $vgpr63_vgpr64
                                        ; implicit-def: $vgpr67_vgpr68
                                        ; implicit-def: $vgpr55_vgpr56
                                        ; implicit-def: $vgpr59_vgpr60
                                        ; implicit-def: $vgpr51_vgpr52
                                        ; implicit-def: $vgpr47_vgpr48
                                        ; implicit-def: $vgpr31_vgpr32
                                        ; implicit-def: $vgpr3_vgpr4
	s_load_dwordx2 s[6:7], s[6:7], 0x0
	v_lshrrev_b32_e32 v132, 16, v0
	v_mul_lo_u16 v0, v132, 7
	v_sub_nc_u16 v0, v255, v0
	v_and_b32_e32 v0, 0xffff, v0
	s_waitcnt lgkmcnt(0)
	s_mul_i32 s7, s7, s20
	s_mul_hi_u32 s10, s6, s20
	s_mul_i32 s6, s6, s20
	v_add_co_u32 v93, s11, s34, v0
	s_add_i32 s10, s10, s7
	v_add_co_ci_u32_e64 v94, null, s33, 0, s11
	s_add_u32 s6, s6, s36
	s_addc_u32 s7, s10, s35
	s_add_u32 s10, s34, 7
	s_addc_u32 s11, s33, 0
	v_cmp_gt_u64_e32 vcc_lo, s[16:17], v[93:94]
	v_cmp_le_u64_e64 s10, s[10:11], s[16:17]
	buffer_store_dword v0, off, s[64:67], 0 ; 4-byte Folded Spill
	s_or_b32 s33, s10, vcc_lo
	s_and_saveexec_b32 s10, s33
	s_cbranch_execz .LBB0_14
; %bb.13:
	buffer_load_dword v5, off, s[64:67], 0  ; 4-byte Folded Reload
	v_mad_u64_u32 v[3:4], null, s0, v132, 0
	v_add_nc_u32_e32 v0, 17, v132
	v_add_nc_u32_e32 v13, 34, v132
	;; [unrolled: 1-line block ×3, first 2 shown]
	s_lshl_b64 s[12:13], s[6:7], 4
	v_add_nc_u32_e32 v16, 0x44, v132
	s_add_u32 s11, s4, s12
	s_addc_u32 s12, s5, s13
	v_mad_u64_u32 v[11:12], null, s0, v15, 0
	v_add_nc_u32_e32 v17, 0x55, v132
	v_add_nc_u32_e32 v19, 0x66, v132
	;; [unrolled: 1-line block ×8, first 2 shown]
	v_mad_u64_u32 v[26:27], null, s0, v35, 0
	v_mad_u64_u32 v[33:34], null, s0, v37, 0
	s_waitcnt vmcnt(0)
	v_mad_u64_u32 v[1:2], null, s2, v5, 0
	v_mad_u64_u32 v[5:6], null, s3, v5, v[2:3]
	;; [unrolled: 1-line block ×4, first 2 shown]
	v_mov_b32_e32 v2, v5
	v_mov_b32_e32 v5, v7
	v_mad_u64_u32 v[9:10], null, s0, v13, 0
	v_lshlrev_b64 v[1:2], 4, v[1:2]
	v_mov_b32_e32 v4, v8
	v_mad_u64_u32 v[7:8], null, s1, v0, v[5:6]
	v_add_co_u32 v0, vcc_lo, s11, v1
	v_lshlrev_b64 v[3:4], 4, v[3:4]
	v_add_co_ci_u32_e32 v72, vcc_lo, s12, v2, vcc_lo
	v_lshlrev_b64 v[5:6], 4, v[6:7]
	v_add_co_u32 v1, vcc_lo, v0, v3
	v_add_co_ci_u32_e32 v2, vcc_lo, v72, v4, vcc_lo
	v_mov_b32_e32 v3, v10
	v_mov_b32_e32 v4, v12
	v_mad_u64_u32 v[7:8], null, s1, v13, v[3:4]
	v_mad_u64_u32 v[13:14], null, s0, v16, 0
	v_mad_u64_u32 v[3:4], null, s1, v15, v[4:5]
	v_add_co_u32 v5, vcc_lo, v0, v5
	v_mov_b32_e32 v10, v7
	v_mad_u64_u32 v[7:8], null, s0, v17, 0
	v_mov_b32_e32 v4, v14
	v_add_co_ci_u32_e32 v6, vcc_lo, v72, v6, vcc_lo
	v_lshlrev_b64 v[9:10], 4, v[9:10]
	v_mov_b32_e32 v12, v3
	v_mad_u64_u32 v[14:15], null, s1, v16, v[4:5]
	s_clause 0x1
	global_load_dwordx4 v[1:4], v[1:2], off
	global_load_dwordx4 v[29:32], v[5:6], off
	v_mad_u64_u32 v[15:16], null, s0, v19, 0
	v_add_co_u32 v9, vcc_lo, v0, v9
	v_lshlrev_b64 v[5:6], 4, v[11:12]
	v_add_co_ci_u32_e32 v10, vcc_lo, v72, v10, vcc_lo
	v_mad_u64_u32 v[11:12], null, s1, v17, v[8:9]
	v_lshlrev_b64 v[12:13], 4, v[13:14]
	v_add_co_u32 v5, vcc_lo, v0, v5
	v_add_co_ci_u32_e32 v6, vcc_lo, v72, v6, vcc_lo
	v_mad_u64_u32 v[17:18], null, s0, v22, 0
	v_mov_b32_e32 v8, v11
	v_mov_b32_e32 v11, v16
	v_add_co_u32 v12, vcc_lo, v0, v12
	v_add_nc_u32_e32 v14, 0x88, v132
	v_lshlrev_b64 v[7:8], 4, v[7:8]
	v_add_co_ci_u32_e32 v13, vcc_lo, v72, v13, vcc_lo
	v_mad_u64_u32 v[19:20], null, s1, v19, v[11:12]
	v_mov_b32_e32 v11, v18
	v_mad_u64_u32 v[20:21], null, s0, v14, 0
	v_add_co_u32 v7, vcc_lo, v0, v7
	v_add_co_ci_u32_e32 v8, vcc_lo, v72, v8, vcc_lo
	v_mov_b32_e32 v16, v19
	v_mad_u64_u32 v[22:23], null, s1, v22, v[11:12]
	v_add_nc_u32_e32 v19, 0x99, v132
	s_clause 0x3
	global_load_dwordx4 v[45:48], v[9:10], off
	global_load_dwordx4 v[49:52], v[5:6], off
	;; [unrolled: 1-line block ×4, first 2 shown]
	v_lshlrev_b64 v[6:7], 4, v[15:16]
	v_mov_b32_e32 v5, v21
	v_mad_u64_u32 v[8:9], null, s0, v19, 0
	v_mov_b32_e32 v18, v22
	v_add_nc_u32_e32 v22, 0xaa, v132
	v_mad_u64_u32 v[10:11], null, s1, v14, v[5:6]
	v_add_co_u32 v5, vcc_lo, v0, v6
	v_add_co_ci_u32_e32 v6, vcc_lo, v72, v7, vcc_lo
	v_lshlrev_b64 v[11:12], 4, v[17:18]
	v_mov_b32_e32 v7, v9
	v_mad_u64_u32 v[13:14], null, s0, v22, 0
	v_mov_b32_e32 v21, v10
	v_mad_u64_u32 v[9:10], null, s1, v19, v[7:8]
	v_add_co_u32 v10, vcc_lo, v0, v11
	v_add_co_ci_u32_e32 v11, vcc_lo, v72, v12, vcc_lo
	v_add_nc_u32_e32 v12, 0xbb, v132
	v_mov_b32_e32 v7, v14
	v_lshlrev_b64 v[15:16], 4, v[20:21]
	s_clause 0x1
	global_load_dwordx4 v[65:68], v[5:6], off
	global_load_dwordx4 v[61:64], v[10:11], off
	v_mad_u64_u32 v[17:18], null, s0, v12, 0
	v_mad_u64_u32 v[19:20], null, s1, v22, v[7:8]
	v_lshlrev_b64 v[7:8], 4, v[8:9]
	v_add_co_u32 v15, vcc_lo, v0, v15
	v_add_co_ci_u32_e32 v16, vcc_lo, v72, v16, vcc_lo
	v_mov_b32_e32 v9, v18
	v_mov_b32_e32 v14, v19
	v_mad_u64_u32 v[19:20], null, s0, v24, 0
	v_add_co_u32 v7, vcc_lo, v0, v7
	v_mad_u64_u32 v[21:22], null, s1, v12, v[9:10]
	v_mad_u64_u32 v[22:23], null, s0, v25, 0
	v_mov_b32_e32 v9, v20
	v_lshlrev_b64 v[12:13], 4, v[13:14]
	v_add_co_ci_u32_e32 v8, vcc_lo, v72, v8, vcc_lo
	v_mov_b32_e32 v18, v21
	v_mad_u64_u32 v[20:21], null, s1, v24, v[9:10]
	v_mov_b32_e32 v9, v23
	v_add_co_u32 v12, vcc_lo, v0, v12
	v_lshlrev_b64 v[17:18], 4, v[17:18]
	v_add_co_ci_u32_e32 v13, vcc_lo, v72, v13, vcc_lo
	v_mad_u64_u32 v[23:24], null, s1, v25, v[9:10]
	v_mad_u64_u32 v[24:25], null, s0, v28, 0
	v_lshlrev_b64 v[19:20], 4, v[19:20]
	v_add_co_u32 v17, vcc_lo, v0, v17
	v_mov_b32_e32 v14, v27
	v_lshlrev_b64 v[21:22], 4, v[22:23]
	v_add_co_ci_u32_e32 v18, vcc_lo, v72, v18, vcc_lo
	v_mov_b32_e32 v9, v25
	v_add_co_u32 v19, vcc_lo, v0, v19
	v_add_co_ci_u32_e32 v20, vcc_lo, v72, v20, vcc_lo
	v_mad_u64_u32 v[27:28], null, s1, v28, v[9:10]
	v_mov_b32_e32 v9, v34
	v_mad_u64_u32 v[35:36], null, s1, v35, v[14:15]
	v_add_co_u32 v69, vcc_lo, v0, v21
	v_add_co_ci_u32_e32 v70, vcc_lo, v72, v22, vcc_lo
	v_mad_u64_u32 v[21:22], null, s1, v37, v[9:10]
	v_mov_b32_e32 v25, v27
	v_mov_b32_e32 v27, v35
	s_clause 0x1
	global_load_dwordx4 v[41:44], v[15:16], off
	global_load_dwordx4 v[37:40], v[7:8], off
	v_lshlrev_b64 v[5:6], 4, v[24:25]
	v_mov_b32_e32 v34, v21
	v_lshlrev_b64 v[7:8], 4, v[26:27]
	v_add_co_u32 v5, vcc_lo, v0, v5
	v_lshlrev_b64 v[9:10], 4, v[33:34]
	v_add_co_ci_u32_e32 v6, vcc_lo, v72, v6, vcc_lo
	v_add_co_u32 v7, vcc_lo, v0, v7
	v_add_co_ci_u32_e32 v8, vcc_lo, v72, v8, vcc_lo
	v_add_co_u32 v71, vcc_lo, v0, v9
	v_add_co_ci_u32_e32 v72, vcc_lo, v72, v10, vcc_lo
	s_clause 0x6
	global_load_dwordx4 v[33:36], v[12:13], off
	global_load_dwordx4 v[25:28], v[17:18], off
	;; [unrolled: 1-line block ×7, first 2 shown]
.LBB0_14:
	s_or_b32 exec_lo, exec_lo, s10
	s_waitcnt vmcnt(7)
	v_add_f64 v[79:80], v[43:44], -v[39:40]
	v_add_f64 v[69:70], v[29:30], v[1:2]
	v_add_f64 v[71:72], v[31:32], v[3:4]
	s_mov_b32 s34, 0xacd6c6b4
	s_mov_b32 s35, 0xbfc7851a
	s_waitcnt vmcnt(5)
	v_add_f64 v[81:82], v[25:26], v[65:66]
	v_add_f64 v[83:84], v[27:28], v[67:68]
	v_add_f64 v[94:95], v[65:66], -v[25:26]
	v_add_f64 v[96:97], v[67:68], -v[27:28]
	;; [unrolled: 1-line block ×4, first 2 shown]
	s_waitcnt vmcnt(0)
	v_add_f64 v[120:121], v[114:115], v[29:30]
	v_add_f64 v[122:123], v[116:117], v[31:32]
	v_add_f64 v[29:30], v[29:30], -v[114:115]
	v_add_f64 v[31:32], v[31:32], -v[116:117]
	s_mov_b32 s36, 0x5d8e7cdc
	s_mov_b32 s37, 0xbfd71e95
	v_add_f64 v[89:90], v[21:22], v[53:54]
	v_add_f64 v[91:92], v[23:24], v[55:56]
	v_add_f64 v[102:103], v[53:54], -v[21:22]
	v_add_f64 v[104:105], v[55:56], -v[23:24]
	v_add_f64 v[98:99], v[17:18], v[57:58]
	v_mul_f64 v[5:6], v[79:80], s[34:35]
	v_add_f64 v[69:70], v[45:46], v[69:70]
	v_add_f64 v[71:72], v[47:48], v[71:72]
	;; [unrolled: 1-line block ×3, first 2 shown]
	v_add_f64 v[106:107], v[57:58], -v[17:18]
	v_add_f64 v[108:109], v[59:60], -v[19:20]
	s_mov_b32 s10, 0x370991
	s_mov_b32 s40, 0x2a9d6da3
	;; [unrolled: 1-line block ×7, first 2 shown]
	v_mul_f64 v[145:146], v[29:30], s[36:37]
	v_mul_f64 v[124:125], v[31:32], s[36:37]
	s_mov_b32 s11, 0x3fedd6d0
	s_mov_b32 s41, 0xbfe58eea
	;; [unrolled: 1-line block ×7, first 2 shown]
	buffer_store_dword v5, off, s[64:67], 0 offset:4 ; 4-byte Folded Spill
	buffer_store_dword v6, off, s[64:67], 0 offset:8 ; 4-byte Folded Spill
	v_add_f64 v[73:74], v[49:50], v[69:70]
	v_add_f64 v[75:76], v[51:52], v[71:72]
	;; [unrolled: 1-line block ×3, first 2 shown]
	v_mul_f64 v[126:127], v[31:32], s[40:41]
	v_mul_f64 v[128:129], v[31:32], s[44:45]
	;; [unrolled: 1-line block ×14, first 2 shown]
	v_fma_f64 v[201:202], v[120:121], s[10:11], v[124:125]
	v_fma_f64 v[205:206], v[122:123], s[10:11], -v[145:146]
	s_mov_b32 s24, 0x75d4884
	s_mov_b32 s12, 0x2b2883cd
	;; [unrolled: 1-line block ×3, first 2 shown]
	v_add_f64 v[110:111], v[57:58], v[73:74]
	v_add_f64 v[112:113], v[59:60], v[75:76]
	;; [unrolled: 1-line block ×6, first 2 shown]
	s_mov_b32 s22, 0xc61f0d01
	s_mov_b32 s18, 0x6ed5f1bb
	;; [unrolled: 1-line block ×11, first 2 shown]
	v_fma_f64 v[124:125], v[120:121], s[10:11], -v[124:125]
	v_fma_f64 v[217:218], v[120:121], s[24:25], v[126:127]
	v_fma_f64 v[126:127], v[120:121], s[24:25], -v[126:127]
	v_fma_f64 v[219:220], v[120:121], s[12:13], v[128:129]
	v_fma_f64 v[128:129], v[120:121], s[12:13], -v[128:129]
	v_add_f64 v[110:111], v[53:54], v[110:111]
	v_add_f64 v[112:113], v[55:56], v[112:113]
	v_add_f64 v[53:54], v[49:50], -v[13:14]
	v_add_f64 v[55:56], v[51:52], -v[15:16]
	v_add_f64 v[49:50], v[9:10], v[45:46]
	v_add_f64 v[51:52], v[11:12], v[47:48]
	v_add_f64 v[45:46], v[45:46], -v[9:10]
	v_add_f64 v[47:48], v[47:48], -v[11:12]
	v_fma_f64 v[221:222], v[120:121], s[20:21], v[130:131]
	v_add_f64 v[201:202], v[1:2], v[201:202]
	v_add_f64 v[205:206], v[3:4], v[205:206]
	v_fma_f64 v[227:228], v[120:121], s[16:17], v[137:138]
	v_fma_f64 v[137:138], v[120:121], s[16:17], -v[137:138]
	v_fma_f64 v[229:230], v[120:121], s[14:15], v[143:144]
	v_fma_f64 v[143:144], v[120:121], s[14:15], -v[143:144]
	v_fma_f64 v[231:232], v[122:123], s[12:13], -v[149:150]
	s_mov_b32 s55, 0x3fc7851a
	s_mov_b32 s54, s34
	v_add_f64 v[217:218], v[1:2], v[217:218]
	v_mul_f64 v[167:168], v[108:109], s[34:35]
	v_mul_f64 v[169:170], v[106:107], s[34:35]
	v_fma_f64 v[149:150], v[122:123], s[12:13], v[149:150]
	v_add_f64 v[65:66], v[65:66], v[110:111]
	v_add_f64 v[67:68], v[67:68], v[112:113]
	v_mul_f64 v[7:8], v[53:54], s[44:45]
	v_mul_f64 v[112:113], v[55:56], s[44:45]
	;; [unrolled: 1-line block ×12, first 2 shown]
	v_fma_f64 v[233:234], v[122:123], s[20:21], -v[151:152]
	v_fma_f64 v[151:152], v[122:123], s[20:21], v[151:152]
	v_fma_f64 v[235:236], v[122:123], s[18:19], -v[155:156]
	v_fma_f64 v[155:156], v[122:123], s[18:19], v[155:156]
	;; [unrolled: 2-line block ×3, first 2 shown]
	v_add_f64 v[126:127], v[1:2], v[126:127]
	v_add_f64 v[219:220], v[1:2], v[219:220]
	;; [unrolled: 1-line block ×4, first 2 shown]
	v_mul_f64 v[67:68], v[108:109], s[38:39]
	v_mul_f64 v[65:66], v[102:103], s[26:27]
	v_fma_f64 v[239:240], v[100:101], s[20:21], -v[110:111]
	v_add_f64 v[231:232], v[3:4], v[231:232]
	v_fma_f64 v[225:226], v[51:52], s[24:25], -v[118:119]
	v_fma_f64 v[223:224], v[49:50], s[24:25], v[29:30]
	v_fma_f64 v[245:246], v[51:52], s[20:21], -v[161:162]
	v_add_f64 v[128:129], v[1:2], v[128:129]
	v_fma_f64 v[249:250], v[49:50], s[18:19], v[185:186]
	v_fma_f64 v[251:252], v[51:52], s[18:19], -v[187:188]
	v_fma_f64 v[185:186], v[49:50], s[18:19], -v[185:186]
	s_mov_b32 s53, 0x3fe0d888
	s_mov_b32 s51, 0x3feec746
	;; [unrolled: 1-line block ×4, first 2 shown]
	v_mul_f64 v[171:172], v[104:105], s[52:53]
	v_mul_f64 v[173:174], v[102:103], s[52:53]
	s_mov_b32 s49, 0x3fe58eea
	s_mov_b32 s48, s40
	v_add_f64 v[69:70], v[37:38], v[41:42]
	v_add_f64 v[139:140], v[41:42], v[61:62]
	;; [unrolled: 1-line block ×3, first 2 shown]
	v_mul_f64 v[63:64], v[104:105], s[26:27]
	v_mul_f64 v[43:44], v[96:97], s[28:29]
	;; [unrolled: 1-line block ×3, first 2 shown]
	v_fma_f64 v[247:248], v[91:92], s[22:23], -v[65:66]
	v_add_f64 v[205:206], v[225:226], v[205:206]
	v_add_f64 v[201:202], v[223:224], v[201:202]
	v_fma_f64 v[223:224], v[59:60], s[12:13], -v[7:8]
	v_fma_f64 v[225:226], v[122:123], s[14:15], -v[159:160]
	v_fma_f64 v[159:160], v[122:123], s[14:15], v[159:160]
	v_add_f64 v[219:220], v[249:250], v[219:220]
	v_fma_f64 v[249:250], v[57:58], s[14:15], v[189:190]
	v_add_f64 v[231:232], v[251:252], v[231:232]
	v_fma_f64 v[251:252], v[59:60], s[14:15], -v[191:192]
	v_add_f64 v[185:186], v[185:186], v[128:129]
	v_add_f64 v[77:78], v[41:42], -v[37:38]
	v_mul_f64 v[41:42], v[87:88], s[30:31]
	v_mul_f64 v[175:176], v[96:97], s[50:51]
	;; [unrolled: 1-line block ×5, first 2 shown]
	v_add_f64 v[139:140], v[37:38], v[139:140]
	v_add_f64 v[39:40], v[39:40], v[141:142]
	v_mul_f64 v[141:142], v[47:48], s[38:39]
	v_fma_f64 v[241:242], v[89:90], s[22:23], v[63:64]
	v_mul_f64 v[37:38], v[85:86], s[30:31]
	v_mul_f64 v[203:204], v[47:48], s[34:35]
	;; [unrolled: 1-line block ×3, first 2 shown]
	v_fma_f64 v[187:188], v[51:52], s[18:19], v[187:188]
	v_add_f64 v[205:206], v[223:224], v[205:206]
	s_mov_b32 s43, 0x3feca52d
	s_mov_b32 s42, s44
	v_mul_f64 v[197:198], v[96:97], s[36:37]
	v_add_f64 v[219:220], v[249:250], v[219:220]
	v_mul_f64 v[179:180], v[87:88], s[42:43]
	v_add_f64 v[231:232], v[251:252], v[231:232]
	v_mul_f64 v[199:200], v[94:95], s[36:37]
	v_mul_f64 v[31:32], v[77:78], s[34:35]
	;; [unrolled: 1-line block ×4, first 2 shown]
	v_fma_f64 v[253:254], v[81:82], s[22:23], v[175:176]
	v_fma_f64 v[189:190], v[57:58], s[14:15], -v[189:190]
	v_fma_f64 v[191:192], v[59:60], s[14:15], v[191:192]
	v_add_f64 v[33:34], v[33:34], v[139:140]
	v_add_f64 v[35:36], v[35:36], v[39:40]
	v_fma_f64 v[243:244], v[49:50], s[20:21], v[141:142]
	v_mul_f64 v[39:40], v[108:109], s[50:51]
	v_mul_f64 v[139:140], v[106:107], s[50:51]
	v_fma_f64 v[223:224], v[75:76], s[16:17], -v[37:38]
	s_mov_b32 s47, 0x3fd71e95
	s_mov_b32 s46, s36
	v_add_f64 v[205:206], v[239:240], v[205:206]
	v_fma_f64 v[239:240], v[91:92], s[16:17], -v[173:174]
	v_fma_f64 v[173:174], v[91:92], s[16:17], v[173:174]
	v_mul_f64 v[181:182], v[85:86], s[42:43]
	v_mul_f64 v[183:184], v[79:80], s[46:47]
	;; [unrolled: 1-line block ×4, first 2 shown]
	v_fma_f64 v[175:176], v[81:82], s[22:23], -v[175:176]
	v_fma_f64 v[249:250], v[81:82], s[10:11], v[197:198]
	v_fma_f64 v[251:252], v[83:84], s[10:11], -v[199:200]
	v_add_f64 v[151:152], v[3:4], v[151:152]
	v_add_f64 v[235:236], v[3:4], v[235:236]
	;; [unrolled: 1-line block ×3, first 2 shown]
	s_mov_b32 s57, 0x3fe9895b
	v_add_f64 v[25:26], v[25:26], v[33:34]
	v_add_f64 v[27:28], v[27:28], v[35:36]
	v_fma_f64 v[33:34], v[120:121], s[20:21], -v[130:131]
	v_fma_f64 v[35:36], v[120:121], s[22:23], v[133:134]
	v_fma_f64 v[130:131], v[120:121], s[22:23], -v[133:134]
	v_fma_f64 v[133:134], v[120:121], s[18:19], v[135:136]
	;; [unrolled: 2-line block ×4, first 2 shown]
	v_add_f64 v[217:218], v[243:244], v[217:218]
	v_fma_f64 v[243:244], v[57:58], s[18:19], v[163:164]
	v_fma_f64 v[163:164], v[57:58], s[18:19], -v[163:164]
	v_add_f64 v[205:206], v[247:248], v[205:206]
	v_fma_f64 v[247:248], v[89:90], s[24:25], v[193:194]
	s_mov_b32 s56, s28
	s_mov_b32 s59, 0x3fefdd0d
	;; [unrolled: 1-line block ×3, first 2 shown]
	v_fma_f64 v[29:30], v[49:50], s[24:25], -v[29:30]
	v_fma_f64 v[7:8], v[59:60], s[12:13], v[7:8]
	v_fma_f64 v[37:38], v[75:76], s[16:17], v[37:38]
	v_mul_u32_u24_e32 v0, 0x770, v132
	v_add_f64 v[21:22], v[21:22], v[25:26]
	v_add_f64 v[23:24], v[23:24], v[27:28]
	v_fma_f64 v[25:26], v[57:58], s[12:13], v[112:113]
	v_fma_f64 v[27:28], v[122:123], s[22:23], -v[153:154]
	v_fma_f64 v[153:154], v[122:123], s[22:23], v[153:154]
	v_fma_f64 v[122:123], v[98:99], s[20:21], v[67:68]
	v_add_f64 v[133:134], v[1:2], v[133:134]
	v_add_f64 v[145:146], v[3:4], v[145:146]
	;; [unrolled: 1-line block ×4, first 2 shown]
	v_fma_f64 v[217:218], v[83:84], s[22:23], -v[177:178]
	v_fma_f64 v[243:244], v[73:74], s[12:13], v[179:180]
	v_fma_f64 v[177:178], v[83:84], s[22:23], v[177:178]
	v_add_f64 v[17:18], v[17:18], v[21:22]
	v_add_f64 v[19:20], v[19:20], v[23:24]
	v_fma_f64 v[23:24], v[49:50], s[20:21], -v[141:142]
	v_fma_f64 v[141:142], v[51:52], s[20:21], v[161:162]
	v_add_f64 v[25:26], v[25:26], v[201:202]
	v_fma_f64 v[21:22], v[81:82], s[18:19], v[43:44]
	v_fma_f64 v[161:162], v[83:84], s[18:19], -v[61:62]
	v_fma_f64 v[201:202], v[73:74], s[16:17], v[41:42]
	v_add_f64 v[145:146], v[245:246], v[145:146]
	v_fma_f64 v[245:246], v[59:60], s[18:19], -v[165:166]
	v_fma_f64 v[165:166], v[59:60], s[18:19], v[165:166]
	v_add_f64 v[27:28], v[3:4], v[27:28]
	v_add_f64 v[153:154], v[3:4], v[153:154]
	v_fma_f64 v[43:44], v[81:82], s[18:19], -v[43:44]
	v_add_f64 v[13:14], v[13:14], v[17:18]
	v_add_f64 v[15:16], v[15:16], v[19:20]
	v_add_f64 v[23:24], v[23:24], v[126:127]
	v_fma_f64 v[126:127], v[98:99], s[14:15], v[167:168]
	v_add_f64 v[141:142], v[141:142], v[147:148]
	v_fma_f64 v[147:148], v[100:101], s[14:15], -v[169:170]
	v_add_f64 v[25:26], v[122:123], v[25:26]
	v_fma_f64 v[122:123], v[89:90], s[16:17], v[171:172]
	v_fma_f64 v[167:168], v[98:99], s[14:15], -v[167:168]
	v_add_f64 v[145:146], v[245:246], v[145:146]
	v_fma_f64 v[169:170], v[100:101], s[14:15], v[169:170]
	v_fma_f64 v[245:246], v[100:101], s[22:23], -v[139:140]
	v_fma_f64 v[171:172], v[89:90], s[16:17], -v[171:172]
	v_add_f64 v[205:206], v[161:162], v[205:206]
	v_add_f64 v[161:162], v[3:4], v[120:121]
	;; [unrolled: 1-line block ×3, first 2 shown]
	v_fma_f64 v[19:20], v[71:72], s[14:15], -v[31:32]
	v_fma_f64 v[139:140], v[100:101], s[22:23], v[139:140]
	v_add_f64 v[221:222], v[1:2], v[33:34]
	v_add_f64 v[33:34], v[1:2], v[130:131]
	;; [unrolled: 1-line block ×6, first 2 shown]
	v_fma_f64 v[23:24], v[98:99], s[22:23], -v[39:40]
	v_add_f64 v[141:142], v[165:166], v[141:142]
	v_fma_f64 v[165:166], v[91:92], s[24:25], -v[195:196]
	v_add_f64 v[25:26], v[241:242], v[25:26]
	v_fma_f64 v[241:242], v[98:99], s[22:23], v[39:40]
	v_add_f64 v[39:40], v[126:127], v[128:129]
	v_add_f64 v[128:129], v[3:4], v[149:150]
	v_add_f64 v[147:148], v[147:148], v[145:146]
	v_fma_f64 v[126:127], v[49:50], s[14:15], v[203:204]
	v_fma_f64 v[149:150], v[51:52], s[14:15], -v[207:208]
	v_add_f64 v[145:146], v[1:2], v[124:125]
	v_add_f64 v[124:125], v[3:4], v[233:234]
	;; [unrolled: 1-line block ×5, first 2 shown]
	v_fma_f64 v[185:186], v[49:50], s[14:15], -v[203:204]
	v_mul_f64 v[203:204], v[85:86], s[56:57]
	v_add_f64 v[114:115], v[114:115], v[9:10]
	v_add_f64 v[116:117], v[116:117], v[11:12]
	;; [unrolled: 1-line block ×3, first 2 shown]
	v_mul_f64 v[11:12], v[87:88], s[38:39]
	v_add_f64 v[167:168], v[169:170], v[141:142]
	v_add_f64 v[141:142], v[3:4], v[159:160]
	v_add_f64 v[21:22], v[21:22], v[25:26]
	v_add_f64 v[169:170], v[241:242], v[219:220]
	v_add_f64 v[135:136], v[122:123], v[39:40]
	v_add_f64 v[187:188], v[187:188], v[128:129]
	v_add_f64 v[219:220], v[245:246], v[231:232]
	v_add_f64 v[13:14], v[239:240], v[147:148]
	v_fma_f64 v[25:26], v[57:58], s[22:23], v[209:210]
	v_add_f64 v[147:148], v[1:2], v[137:138]
	v_add_f64 v[126:127], v[126:127], v[120:121]
	;; [unrolled: 1-line block ×9, first 2 shown]
	v_fma_f64 v[23:24], v[100:101], s[10:11], -v[215:216]
	v_add_f64 v[185:186], v[185:186], v[221:222]
	v_add_f64 v[149:150], v[171:172], v[163:164]
	v_fma_f64 v[171:172], v[75:76], s[12:13], v[181:182]
	v_add_f64 v[157:158], v[173:174], v[167:168]
	v_mul_f64 v[167:168], v[77:78], s[46:47]
	v_add_f64 v[21:22], v[201:202], v[21:22]
	v_add_f64 v[201:202], v[223:224], v[205:206]
	;; [unrolled: 1-line block ×4, first 2 shown]
	v_fma_f64 v[17:18], v[69:70], s[14:15], v[5:6]
	v_fma_f64 v[5:6], v[59:60], s[22:23], -v[211:212]
	v_add_f64 v[159:160], v[247:248], v[169:170]
	v_add_f64 v[163:164], v[165:166], v[219:220]
	;; [unrolled: 1-line block ×3, first 2 shown]
	v_mul_f64 v[13:14], v[85:86], s[38:39]
	v_mul_f64 v[165:166], v[102:103], s[44:45]
	v_fma_f64 v[169:170], v[73:74], s[12:13], -v[179:180]
	v_fma_f64 v[173:174], v[73:74], s[20:21], v[11:12]
	v_mul_f64 v[179:180], v[77:78], s[30:31]
	v_fma_f64 v[189:190], v[73:74], s[20:21], -v[11:12]
	v_fma_f64 v[191:192], v[51:52], s[14:15], v[207:208]
	v_mul_f64 v[205:206], v[77:78], s[48:49]
	v_mul_f64 v[207:208], v[106:107], s[30:31]
	v_add_f64 v[149:150], v[175:176], v[149:150]
	v_add_f64 v[29:30], v[29:30], v[145:146]
	;; [unrolled: 1-line block ×3, first 2 shown]
	v_mul_f64 v[177:178], v[79:80], s[30:31]
	v_add_f64 v[3:4], v[19:20], v[201:202]
	v_add_f64 v[19:20], v[25:26], v[126:127]
	v_mul_f64 v[25:26], v[104:105], s[44:45]
	v_add_f64 v[1:2], v[17:18], v[21:22]
	v_fma_f64 v[17:18], v[89:90], s[24:25], -v[193:194]
	v_add_f64 v[5:6], v[5:6], v[124:125]
	v_fma_f64 v[21:22], v[98:99], s[10:11], v[213:214]
	v_add_f64 v[124:125], v[243:244], v[135:136]
	v_fma_f64 v[126:127], v[75:76], s[12:13], -v[181:182]
	v_fma_f64 v[135:136], v[69:70], s[10:11], v[183:184]
	v_add_f64 v[159:160], v[249:250], v[159:160]
	v_add_f64 v[163:164], v[251:252], v[163:164]
	;; [unrolled: 1-line block ×3, first 2 shown]
	v_fma_f64 v[143:144], v[91:92], s[24:25], v[195:196]
	v_fma_f64 v[175:176], v[75:76], s[20:21], -v[13:14]
	v_mul_f64 v[181:182], v[96:97], s[30:31]
	v_fma_f64 v[193:194], v[57:58], s[22:23], -v[209:210]
	v_mul_f64 v[201:202], v[55:56], s[48:49]
	v_fma_f64 v[209:210], v[71:72], s[24:25], -v[205:206]
	v_add_f64 v[157:158], v[171:172], v[157:158]
	v_fma_f64 v[171:172], v[69:70], s[10:11], -v[183:184]
	v_fma_f64 v[183:184], v[71:72], s[16:17], -v[179:180]
	v_add_f64 v[15:16], v[17:18], v[15:16]
	v_fma_f64 v[17:18], v[81:82], s[10:11], -v[197:198]
	v_add_f64 v[19:20], v[21:22], v[19:20]
	v_add_f64 v[5:6], v[23:24], v[5:6]
	v_fma_f64 v[21:22], v[89:90], s[12:13], v[25:26]
	v_fma_f64 v[23:24], v[91:92], s[12:13], -v[165:166]
	v_add_f64 v[126:127], v[126:127], v[9:10]
	v_add_f64 v[9:10], v[135:136], v[124:125]
	v_fma_f64 v[124:125], v[71:72], s[10:11], -v[167:168]
	v_add_f64 v[135:136], v[169:170], v[149:150]
	v_mul_f64 v[149:150], v[94:95], s[30:31]
	v_mul_f64 v[169:170], v[47:48], s[52:53]
	v_fma_f64 v[167:168], v[71:72], s[10:11], v[167:168]
	v_add_f64 v[139:140], v[143:144], v[139:140]
	v_fma_f64 v[143:144], v[83:84], s[10:11], v[199:200]
	v_add_f64 v[159:160], v[173:174], v[159:160]
	v_add_f64 v[163:164], v[175:176], v[163:164]
	v_mul_f64 v[173:174], v[45:46], s[52:53]
	v_fma_f64 v[175:176], v[69:70], s[16:17], v[177:178]
	v_mul_f64 v[197:198], v[87:88], s[56:57]
	v_fma_f64 v[177:178], v[69:70], s[16:17], -v[177:178]
	v_fma_f64 v[25:26], v[89:90], s[12:13], -v[25:26]
	v_add_f64 v[187:188], v[17:18], v[15:16]
	v_add_f64 v[21:22], v[21:22], v[19:20]
	;; [unrolled: 1-line block ×3, first 2 shown]
	v_fma_f64 v[23:24], v[81:82], s[16:17], v[181:182]
	v_add_f64 v[11:12], v[124:125], v[126:127]
	v_fma_f64 v[126:127], v[75:76], s[20:21], v[13:14]
	v_fma_f64 v[195:196], v[83:84], s[16:17], -v[149:150]
	v_fma_f64 v[199:200], v[49:50], s[16:17], v[169:170]
	v_add_f64 v[13:14], v[171:172], v[135:136]
	v_add_f64 v[15:16], v[167:168], v[157:158]
	;; [unrolled: 1-line block ×3, first 2 shown]
	v_mul_f64 v[139:140], v[53:54], s[48:49]
	v_mul_f64 v[157:158], v[47:48], s[50:51]
	v_fma_f64 v[135:136], v[51:52], s[16:17], -v[173:174]
	v_add_f64 v[17:18], v[175:176], v[159:160]
	v_mul_f64 v[159:160], v[45:46], s[50:51]
	v_add_f64 v[19:20], v[183:184], v[163:164]
	v_fma_f64 v[163:164], v[59:60], s[22:23], v[211:212]
	v_fma_f64 v[167:168], v[98:99], s[10:11], -v[213:214]
	v_add_f64 v[143:144], v[189:190], v[187:188]
	v_fma_f64 v[171:172], v[73:74], s[18:19], v[197:198]
	v_fma_f64 v[183:184], v[57:58], s[24:25], v[201:202]
	v_fma_f64 v[187:188], v[75:76], s[18:19], -v[203:204]
	v_fma_f64 v[169:170], v[49:50], s[16:17], -v[169:170]
	v_add_f64 v[21:22], v[23:24], v[21:22]
	v_add_f64 v[23:24], v[191:192], v[151:152]
	;; [unrolled: 1-line block ×3, first 2 shown]
	v_mul_f64 v[185:186], v[108:109], s[44:45]
	v_add_f64 v[5:6], v[195:196], v[5:6]
	v_add_f64 v[175:176], v[199:200], v[233:234]
	v_mul_f64 v[191:192], v[106:107], s[44:45]
	v_fma_f64 v[173:174], v[51:52], s[16:17], v[173:174]
	v_add_f64 v[124:125], v[126:127], v[124:125]
	v_fma_f64 v[126:127], v[71:72], s[16:17], v[179:180]
	v_fma_f64 v[179:180], v[49:50], s[22:23], v[157:158]
	v_add_f64 v[27:28], v[135:136], v[27:28]
	v_fma_f64 v[135:136], v[59:60], s[24:25], -v[139:140]
	v_fma_f64 v[193:194], v[51:52], s[22:23], -v[159:160]
	v_mul_f64 v[195:196], v[55:56], s[36:37]
	v_mul_f64 v[199:200], v[53:54], s[36:37]
	;; [unrolled: 1-line block ×3, first 2 shown]
	v_fma_f64 v[139:140], v[59:60], s[24:25], v[139:140]
	v_mul_f64 v[211:212], v[94:95], s[58:59]
	v_fma_f64 v[149:150], v[83:84], s[16:17], v[149:150]
	v_add_f64 v[33:34], v[169:170], v[33:34]
	v_fma_f64 v[169:170], v[57:58], s[24:25], -v[201:202]
	v_add_f64 v[23:24], v[163:164], v[23:24]
	v_add_f64 v[151:152], v[167:168], v[151:152]
	v_fma_f64 v[163:164], v[100:101], s[10:11], v[215:216]
	v_add_f64 v[167:168], v[171:172], v[21:22]
	v_add_f64 v[21:22], v[183:184], v[175:176]
	v_fma_f64 v[171:172], v[98:99], s[12:13], v[185:186]
	v_add_f64 v[5:6], v[187:188], v[5:6]
	v_mul_f64 v[183:184], v[104:105], s[34:35]
	v_mul_f64 v[187:188], v[102:103], s[34:35]
	v_add_f64 v[153:154], v[173:174], v[153:154]
	v_add_f64 v[133:134], v[179:180], v[133:134]
	;; [unrolled: 1-line block ×3, first 2 shown]
	v_fma_f64 v[135:136], v[100:101], s[12:13], -v[191:192]
	v_add_f64 v[173:174], v[193:194], v[235:236]
	v_fma_f64 v[179:180], v[57:58], s[10:11], v[195:196]
	v_fma_f64 v[193:194], v[59:60], s[10:11], -v[199:200]
	v_mul_f64 v[201:202], v[108:109], s[30:31]
	v_fma_f64 v[175:176], v[69:70], s[24:25], v[189:190]
	v_fma_f64 v[189:190], v[69:70], s[24:25], -v[189:190]
	v_add_f64 v[33:34], v[169:170], v[33:34]
	v_fma_f64 v[169:170], v[98:99], s[12:13], -v[185:186]
	v_add_f64 v[25:26], v[25:26], v[151:152]
	v_add_f64 v[23:24], v[163:164], v[23:24]
	v_fma_f64 v[151:152], v[91:92], s[12:13], v[165:166]
	v_fma_f64 v[163:164], v[81:82], s[16:17], -v[181:182]
	v_add_f64 v[165:166], v[171:172], v[21:22]
	v_mul_f64 v[181:182], v[96:97], s[58:59]
	v_fma_f64 v[171:172], v[89:90], s[14:15], v[183:184]
	v_fma_f64 v[185:186], v[91:92], s[14:15], -v[187:188]
	v_add_f64 v[139:140], v[139:140], v[153:154]
	v_fma_f64 v[153:154], v[100:101], s[12:13], v[191:192]
	v_add_f64 v[21:22], v[177:178], v[143:144]
	v_add_f64 v[27:28], v[135:136], v[27:28]
	v_mul_f64 v[191:192], v[104:105], s[58:59]
	v_add_f64 v[143:144], v[179:180], v[133:134]
	v_add_f64 v[173:174], v[193:194], v[173:174]
	v_fma_f64 v[177:178], v[98:99], s[16:17], v[201:202]
	v_fma_f64 v[179:180], v[100:101], s[16:17], -v[207:208]
	v_mul_f64 v[193:194], v[102:103], s[58:59]
	v_add_f64 v[133:134], v[175:176], v[167:168]
	v_fma_f64 v[167:168], v[89:90], s[14:15], -v[183:184]
	v_add_f64 v[135:136], v[209:210], v[5:6]
	v_add_f64 v[33:34], v[169:170], v[33:34]
	v_mul_f64 v[183:184], v[94:95], s[40:41]
	v_mul_f64 v[169:170], v[87:88], s[36:37]
	v_add_f64 v[23:24], v[151:152], v[23:24]
	v_add_f64 v[25:26], v[163:164], v[25:26]
	v_fma_f64 v[151:152], v[49:50], s[22:23], -v[157:158]
	v_fma_f64 v[157:158], v[51:52], s[22:23], v[159:160]
	v_fma_f64 v[159:160], v[73:74], s[18:19], -v[197:198]
	v_add_f64 v[163:164], v[171:172], v[165:166]
	v_fma_f64 v[165:166], v[81:82], s[20:21], v[181:182]
	v_add_f64 v[139:140], v[153:154], v[139:140]
	v_fma_f64 v[153:154], v[91:92], s[14:15], v[187:188]
	v_add_f64 v[5:6], v[185:186], v[27:28]
	v_fma_f64 v[27:28], v[83:84], s[20:21], -v[211:212]
	v_fma_f64 v[175:176], v[89:90], s[20:21], v[191:192]
	v_mul_f64 v[171:172], v[85:86], s[36:37]
	v_add_f64 v[143:144], v[177:178], v[143:144]
	v_add_f64 v[173:174], v[179:180], v[173:174]
	v_fma_f64 v[177:178], v[91:92], s[20:21], -v[193:194]
	v_mul_f64 v[179:180], v[96:97], s[40:41]
	v_mul_f64 v[187:188], v[87:88], s[34:35]
	;; [unrolled: 1-line block ×3, first 2 shown]
	v_add_f64 v[33:34], v[167:168], v[33:34]
	v_mul_f64 v[167:168], v[45:46], s[42:43]
	v_mul_f64 v[45:46], v[45:46], s[46:47]
	v_add_f64 v[23:24], v[149:150], v[23:24]
	v_fma_f64 v[149:150], v[75:76], s[18:19], v[203:204]
	v_add_f64 v[35:36], v[151:152], v[35:36]
	v_add_f64 v[151:152], v[157:158], v[155:156]
	v_fma_f64 v[155:156], v[57:58], s[10:11], -v[195:196]
	v_fma_f64 v[157:158], v[59:60], s[10:11], v[199:200]
	v_add_f64 v[25:26], v[159:160], v[25:26]
	v_add_f64 v[159:160], v[165:166], v[163:164]
	v_fma_f64 v[163:164], v[81:82], s[20:21], -v[181:182]
	v_mul_f64 v[165:166], v[47:48], s[42:43]
	v_add_f64 v[5:6], v[27:28], v[5:6]
	v_add_f64 v[27:28], v[153:154], v[139:140]
	v_fma_f64 v[139:140], v[83:84], s[20:21], v[211:212]
	v_add_f64 v[143:144], v[175:176], v[143:144]
	v_mul_f64 v[195:196], v[85:86], s[34:35]
	v_add_f64 v[173:174], v[177:178], v[173:174]
	v_fma_f64 v[175:176], v[81:82], s[24:25], v[179:180]
	v_fma_f64 v[177:178], v[83:84], s[24:25], -v[183:184]
	v_fma_f64 v[153:154], v[73:74], s[10:11], v[169:170]
	v_fma_f64 v[181:182], v[75:76], s[10:11], -v[171:172]
	v_fma_f64 v[197:198], v[51:52], s[12:13], -v[167:168]
	v_mul_f64 v[199:200], v[55:56], s[38:39]
	v_mul_f64 v[47:48], v[47:48], s[46:47]
	v_fma_f64 v[167:168], v[51:52], s[12:13], v[167:168]
	v_mul_f64 v[55:56], v[55:56], s[30:31]
	v_add_f64 v[23:24], v[149:150], v[23:24]
	v_add_f64 v[35:36], v[155:156], v[35:36]
	;; [unrolled: 1-line block ×3, first 2 shown]
	v_fma_f64 v[155:156], v[98:99], s[16:17], -v[201:202]
	v_fma_f64 v[157:158], v[100:101], s[16:17], v[207:208]
	v_add_f64 v[33:34], v[163:164], v[33:34]
	v_fma_f64 v[163:164], v[49:50], s[12:13], v[165:166]
	v_mul_f64 v[201:202], v[53:54], s[38:39]
	v_fma_f64 v[165:166], v[49:50], s[12:13], -v[165:166]
	v_add_f64 v[27:28], v[139:140], v[27:28]
	v_fma_f64 v[139:140], v[73:74], s[10:11], -v[169:170]
	v_fma_f64 v[169:170], v[75:76], s[10:11], v[171:172]
	v_mul_f64 v[53:54], v[53:54], s[30:31]
	v_add_f64 v[143:144], v[175:176], v[143:144]
	v_add_f64 v[171:172], v[177:178], v[173:174]
	v_fma_f64 v[173:174], v[73:74], s[14:15], v[187:188]
	v_fma_f64 v[175:176], v[75:76], s[14:15], -v[195:196]
	v_add_f64 v[130:131], v[197:198], v[130:131]
	v_mul_f64 v[149:150], v[77:78], s[28:29]
	v_add_f64 v[5:6], v[181:182], v[5:6]
	v_add_f64 v[122:123], v[167:168], v[122:123]
	v_fma_f64 v[167:168], v[57:58], s[16:17], v[55:56]
	v_fma_f64 v[55:56], v[57:58], s[16:17], -v[55:56]
	v_mul_f64 v[197:198], v[77:78], s[42:43]
	v_mul_f64 v[181:182], v[79:80], s[42:43]
	v_add_f64 v[35:36], v[155:156], v[35:36]
	v_add_f64 v[151:152], v[157:158], v[151:152]
	v_fma_f64 v[155:156], v[89:90], s[20:21], -v[191:192]
	v_fma_f64 v[157:158], v[91:92], s[20:21], v[193:194]
	v_add_f64 v[128:129], v[163:164], v[128:129]
	v_fma_f64 v[163:164], v[57:58], s[20:21], v[199:200]
	v_fma_f64 v[191:192], v[59:60], s[20:21], -v[201:202]
	v_mul_f64 v[193:194], v[108:109], s[56:57]
	v_add_f64 v[33:34], v[139:140], v[33:34]
	v_mul_f64 v[139:140], v[106:107], s[56:57]
	v_add_f64 v[147:148], v[165:166], v[147:148]
	v_fma_f64 v[165:166], v[59:60], s[20:21], v[201:202]
	v_add_f64 v[143:144], v[173:174], v[143:144]
	v_add_f64 v[171:172], v[175:176], v[171:172]
	v_fma_f64 v[173:174], v[49:50], s[10:11], v[47:48]
	v_fma_f64 v[175:176], v[51:52], s[10:11], -v[45:46]
	v_fma_f64 v[47:48], v[49:50], s[10:11], -v[47:48]
	v_fma_f64 v[49:50], v[51:52], s[24:25], v[118:119]
	v_fma_f64 v[45:46], v[51:52], s[10:11], v[45:46]
	v_mul_f64 v[106:107], v[106:107], s[48:49]
	v_mul_f64 v[118:119], v[104:105], s[36:37]
	;; [unrolled: 1-line block ×4, first 2 shown]
	v_fma_f64 v[177:178], v[71:72], s[18:19], -v[149:150]
	v_add_f64 v[35:36], v[155:156], v[35:36]
	v_add_f64 v[151:152], v[157:158], v[151:152]
	v_mul_f64 v[157:158], v[102:103], s[36:37]
	v_add_f64 v[128:129], v[163:164], v[128:129]
	v_add_f64 v[130:131], v[191:192], v[130:131]
	v_fma_f64 v[155:156], v[98:99], s[18:19], v[193:194]
	v_fma_f64 v[163:164], v[57:58], s[20:21], -v[199:200]
	v_fma_f64 v[51:52], v[100:101], s[18:19], -v[139:140]
	;; [unrolled: 1-line block ×3, first 2 shown]
	v_add_f64 v[122:123], v[165:166], v[122:123]
	v_fma_f64 v[145:146], v[98:99], s[18:19], -v[193:194]
	v_fma_f64 v[139:140], v[100:101], s[18:19], v[139:140]
	v_add_f64 v[39:40], v[173:174], v[39:40]
	v_add_f64 v[120:121], v[175:176], v[120:121]
	v_fma_f64 v[173:174], v[59:60], s[16:17], -v[53:54]
	v_add_f64 v[49:50], v[49:50], v[161:162]
	v_add_f64 v[47:48], v[47:48], v[137:138]
	;; [unrolled: 1-line block ×3, first 2 shown]
	v_fma_f64 v[53:54], v[59:60], s[16:17], v[53:54]
	v_mul_f64 v[102:103], v[102:103], s[28:29]
	v_fma_f64 v[137:138], v[81:82], s[24:25], -v[179:180]
	v_fma_f64 v[59:60], v[89:90], s[10:11], v[118:119]
	v_fma_f64 v[141:142], v[83:84], s[24:25], v[183:184]
	;; [unrolled: 1-line block ×3, first 2 shown]
	v_fma_f64 v[112:113], v[91:92], s[10:11], -v[157:158]
	v_add_f64 v[153:154], v[153:154], v[159:160]
	v_fma_f64 v[159:160], v[69:70], s[18:19], v[185:186]
	v_add_f64 v[128:129], v[155:156], v[128:129]
	v_fma_f64 v[155:156], v[100:101], s[24:25], -v[106:107]
	v_add_f64 v[51:52], v[51:52], v[130:131]
	v_add_f64 v[130:131], v[163:164], v[147:148]
	v_add_f64 v[29:30], v[57:58], v[29:30]
	v_fma_f64 v[147:148], v[98:99], s[24:25], v[108:109]
	v_fma_f64 v[57:58], v[100:101], s[20:21], v[110:111]
	v_fma_f64 v[110:111], v[89:90], s[10:11], -v[118:119]
	v_add_f64 v[39:40], v[167:168], v[39:40]
	v_add_f64 v[120:121], v[173:174], v[120:121]
	;; [unrolled: 1-line block ×3, first 2 shown]
	v_fma_f64 v[49:50], v[98:99], s[20:21], -v[67:68]
	v_add_f64 v[47:48], v[55:56], v[47:48]
	v_add_f64 v[45:46], v[53:54], v[45:46]
	v_fma_f64 v[53:54], v[98:99], s[24:25], -v[108:109]
	v_fma_f64 v[55:56], v[100:101], s[24:25], v[106:107]
	v_mul_f64 v[106:107], v[96:97], s[34:35]
	v_mul_f64 v[108:109], v[94:95], s[34:35]
	v_add_f64 v[100:101], v[139:140], v[122:123]
	v_fma_f64 v[122:123], v[91:92], s[18:19], -v[102:103]
	v_mul_f64 v[94:95], v[94:95], s[42:43]
	v_add_f64 v[35:36], v[137:138], v[35:36]
	v_add_f64 v[59:60], v[59:60], v[128:129]
	v_mul_f64 v[96:97], v[96:97], s[42:43]
	v_add_f64 v[51:52], v[112:113], v[51:52]
	v_add_f64 v[98:99], v[145:146], v[130:131]
	v_fma_f64 v[112:113], v[91:92], s[10:11], v[157:158]
	v_mul_f64 v[128:129], v[87:88], s[48:49]
	v_add_f64 v[67:68], v[141:142], v[151:152]
	v_mul_f64 v[87:88], v[87:88], s[26:27]
	v_add_f64 v[39:40], v[147:148], v[39:40]
	v_add_f64 v[118:119], v[155:156], v[120:121]
	v_fma_f64 v[120:121], v[89:90], s[18:19], v[104:105]
	v_add_f64 v[29:30], v[49:50], v[29:30]
	v_fma_f64 v[49:50], v[89:90], s[22:23], -v[63:64]
	v_add_f64 v[7:8], v[57:58], v[7:8]
	v_add_f64 v[47:48], v[53:54], v[47:48]
	;; [unrolled: 1-line block ×3, first 2 shown]
	v_fma_f64 v[53:54], v[89:90], s[18:19], -v[104:105]
	v_fma_f64 v[55:56], v[91:92], s[18:19], v[102:103]
	v_fma_f64 v[102:103], v[81:82], s[14:15], v[106:107]
	v_fma_f64 v[104:105], v[83:84], s[14:15], -v[108:109]
	v_fma_f64 v[57:58], v[91:92], s[22:23], v[65:66]
	v_fma_f64 v[63:64], v[73:74], s[14:15], -v[187:188]
	v_mul_f64 v[89:90], v[85:86], s[48:49]
	v_mul_f64 v[85:86], v[85:86], s[26:27]
	v_fma_f64 v[65:66], v[75:76], s[14:15], v[195:196]
	v_add_f64 v[91:92], v[110:111], v[98:99]
	v_add_f64 v[98:99], v[112:113], v[100:101]
	v_fma_f64 v[100:101], v[81:82], s[14:15], -v[106:107]
	v_fma_f64 v[106:107], v[83:84], s[14:15], v[108:109]
	v_fma_f64 v[112:113], v[83:84], s[12:13], -v[94:95]
	v_fma_f64 v[110:111], v[81:82], s[12:13], v[96:97]
	v_add_f64 v[108:109], v[122:123], v[118:119]
	v_add_f64 v[39:40], v[120:121], v[39:40]
	;; [unrolled: 1-line block ×4, first 2 shown]
	v_fma_f64 v[49:50], v[83:84], s[18:19], v[61:62]
	v_mul_f64 v[61:62], v[79:80], s[26:27]
	v_mul_f64 v[79:80], v[79:80], s[58:59]
	v_add_f64 v[47:48], v[53:54], v[47:48]
	v_add_f64 v[45:46], v[55:56], v[45:46]
	v_fma_f64 v[53:54], v[81:82], s[12:13], -v[96:97]
	v_fma_f64 v[55:56], v[83:84], s[12:13], v[94:95]
	v_add_f64 v[59:60], v[102:103], v[59:60]
	v_fma_f64 v[96:97], v[73:74], s[24:25], -v[128:129]
	v_add_f64 v[63:64], v[63:64], v[35:36]
	v_fma_f64 v[102:103], v[75:76], s[22:23], -v[85:86]
	v_fma_f64 v[35:36], v[73:74], s[16:17], -v[41:42]
	v_fma_f64 v[94:95], v[73:74], s[24:25], v[128:129]
	v_add_f64 v[7:8], v[57:58], v[7:8]
	v_add_f64 v[83:84], v[100:101], v[91:92]
	;; [unrolled: 1-line block ×3, first 2 shown]
	v_fma_f64 v[57:58], v[75:76], s[24:25], -v[89:90]
	v_mul_f64 v[81:82], v[77:78], s[26:27]
	v_add_f64 v[98:99], v[112:113], v[108:109]
	v_fma_f64 v[89:90], v[75:76], s[24:25], v[89:90]
	v_mul_f64 v[77:78], v[77:78], s[58:59]
	v_add_f64 v[29:30], v[43:44], v[29:30]
	v_add_f64 v[65:66], v[65:66], v[67:68]
	v_fma_f64 v[100:101], v[73:74], s[22:23], v[87:88]
	v_fma_f64 v[43:44], v[71:72], s[12:13], v[197:198]
	v_add_f64 v[51:52], v[104:105], v[51:52]
	v_add_f64 v[39:40], v[110:111], v[39:40]
	;; [unrolled: 1-line block ×4, first 2 shown]
	v_fma_f64 v[53:54], v[73:74], s[22:23], -v[87:88]
	v_fma_f64 v[55:56], v[75:76], s[22:23], v[85:86]
	v_fma_f64 v[85:86], v[71:72], s[12:13], -v[197:198]
	v_fma_f64 v[169:170], v[69:70], s[18:19], -v[185:186]
	v_fma_f64 v[185:186], v[69:70], s[12:13], v[181:182]
	v_fma_f64 v[87:88], v[69:70], s[20:21], v[79:80]
	v_add_f64 v[7:8], v[49:50], v[7:8]
	v_add_f64 v[67:68], v[96:97], v[83:84]
	;; [unrolled: 1-line block ×3, first 2 shown]
	v_fma_f64 v[96:97], v[71:72], s[24:25], v[205:206]
	v_fma_f64 v[59:60], v[71:72], s[22:23], -v[81:82]
	v_add_f64 v[83:84], v[102:103], v[98:99]
	v_add_f64 v[73:74], v[89:90], v[91:92]
	v_fma_f64 v[89:90], v[71:72], s[20:21], -v[77:78]
	v_add_f64 v[98:99], v[35:36], v[29:30]
	s_clause 0x1
	buffer_load_dword v29, off, s[64:67], 0 offset:4
	buffer_load_dword v30, off, s[64:67], 0 offset:8
	v_fma_f64 v[77:78], v[71:72], s[20:21], v[77:78]
	v_fma_f64 v[81:82], v[71:72], s[22:23], v[81:82]
	;; [unrolled: 1-line block ×3, first 2 shown]
	v_add_f64 v[31:32], v[177:178], v[5:6]
	buffer_load_dword v5, off, s[64:67], 0  ; 4-byte Folded Reload
	v_add_f64 v[51:52], v[57:58], v[51:52]
	v_fma_f64 v[57:58], v[69:70], s[22:23], v[61:62]
	v_add_f64 v[75:76], v[100:101], v[39:40]
	v_add_f64 v[91:92], v[53:54], v[47:48]
	;; [unrolled: 1-line block ×3, first 2 shown]
	v_fma_f64 v[79:80], v[69:70], s[20:21], -v[79:80]
	v_fma_f64 v[61:62], v[69:70], s[22:23], -v[61:62]
	;; [unrolled: 1-line block ×3, first 2 shown]
	v_add_f64 v[7:8], v[37:38], v[7:8]
	v_add_f64 v[37:38], v[185:186], v[143:144]
	;; [unrolled: 1-line block ×19, first 2 shown]
	s_waitcnt vmcnt(1)
	v_fma_f64 v[69:70], v[69:70], s[14:15], -v[29:30]
	v_add_f64 v[29:30], v[159:160], v[153:154]
	s_waitcnt vmcnt(0)
	v_lshlrev_b32_e32 v65, 4, v5
	v_add3_u32 v0, 0, v0, v65
	v_add_f64 v[61:62], v[69:70], v[98:99]
	ds_write_b128 v0, v[114:117]
	ds_write_b128 v0, v[1:4] offset:112
	ds_write_b128 v0, v[9:12] offset:224
	;; [unrolled: 1-line block ×16, first 2 shown]
	s_waitcnt lgkmcnt(0)
	s_waitcnt_vscnt null, 0x0
	s_barrier
	buffer_gl0_inv
	s_and_saveexec_b32 s62, s33
	s_cbranch_execz .LBB0_16
; %bb.15:
	v_mul_lo_u16 v0, v132, 31
	v_mov_b32_e32 v98, 4
	v_mov_b32_e32 v151, v255
	v_lshrrev_b16 v0, 9, v0
	v_mul_lo_u16 v0, v0, 17
	v_sub_nc_u16 v0, v132, v0
	v_and_b32_e32 v97, 0xff, v0
	v_mul_u32_u24_e32 v0, 0x70, v132
	v_lshlrev_b32_e32 v37, 8, v97
	v_mul_lo_u32 v95, v93, v97
	v_add3_u32 v94, 0, v0, v65
	s_clause 0xf
	global_load_dwordx4 v[1:4], v37, s[60:61] offset:112
	global_load_dwordx4 v[29:32], v37, s[60:61] offset:128
	;; [unrolled: 1-line block ×14, first 2 shown]
	global_load_dwordx4 v[57:60], v37, s[60:61]
	global_load_dwordx4 v[37:40], v37, s[60:61] offset:240
	ds_read_b128 v[81:84], v94 offset:15232
	ds_read_b128 v[85:88], v94 offset:17136
	v_bfe_u32 v0, v95, 8, 8
	v_lshlrev_b32_sdwa v65, v98, v95 dst_sel:DWORD dst_unused:UNUSED_PAD src0_sel:DWORD src1_sel:BYTE_0
	v_lshl_or_b32 v0, v0, 4, 0x1000
	s_clause 0x1
	global_load_dwordx4 v[65:68], v65, s[8:9]
	global_load_dwordx4 v[69:72], v0, s[8:9]
	v_add_nc_u32_e32 v0, 0x110, v97
	ds_read_b128 v[89:92], v94 offset:13328
	ds_read_b128 v[99:102], v94 offset:11424
	;; [unrolled: 1-line block ×3, first 2 shown]
	v_mul_lo_u32 v96, v93, v0
	v_add_nc_u32_e32 v0, 0xff, v97
	s_waitcnt vmcnt(17) lgkmcnt(4)
	v_mul_f64 v[107:108], v[83:84], v[3:4]
	v_mul_f64 v[3:4], v[81:82], v[3:4]
	s_waitcnt vmcnt(16) lgkmcnt(3)
	v_mul_f64 v[111:112], v[87:88], v[31:32]
	v_mul_f64 v[113:114], v[85:86], v[31:32]
	v_bfe_u32 v32, v96, 8, 8
	v_mul_lo_u32 v31, v93, v0
	v_lshlrev_b32_sdwa v0, v98, v96 dst_sel:DWORD dst_unused:UNUSED_PAD src0_sel:DWORD src1_sel:BYTE_0
	s_waitcnt vmcnt(15) lgkmcnt(2)
	v_mul_f64 v[115:116], v[91:92], v[27:28]
	v_mul_f64 v[117:118], v[89:90], v[27:28]
	v_lshl_or_b32 v32, v32, 4, 0x1000
	s_clause 0x1
	global_load_dwordx4 v[73:76], v0, s[8:9]
	global_load_dwordx4 v[77:80], v32, s[8:9]
	v_bfe_u32 v0, v31, 8, 8
	v_lshlrev_b32_sdwa v27, v98, v31 dst_sel:DWORD dst_unused:UNUSED_PAD src0_sel:DWORD src1_sel:BYTE_0
	v_add_nc_u32_e32 v32, 0xee, v97
	v_lshl_or_b32 v0, v0, 4, 0x1000
	v_mul_lo_u32 v32, v93, v32
	v_fma_f64 v[129:130], v[81:82], v[1:2], v[107:108]
	v_fma_f64 v[136:137], v[83:84], v[1:2], -v[3:4]
	ds_read_b128 v[1:4], v94 offset:20944
	v_fma_f64 v[138:139], v[85:86], v[29:30], v[111:112]
	v_fma_f64 v[140:141], v[87:88], v[29:30], -v[113:114]
	s_clause 0x1
	global_load_dwordx4 v[27:30], v27, s[8:9]
	global_load_dwordx4 v[81:84], v0, s[8:9]
	s_waitcnt vmcnt(18) lgkmcnt(1)
	v_mul_f64 v[107:108], v[105:106], v[23:24]
	v_bfe_u32 v0, v32, 8, 8
	v_lshlrev_b32_sdwa v85, v98, v32 dst_sel:DWORD dst_unused:UNUSED_PAD src0_sel:DWORD src1_sel:BYTE_0
	v_fma_f64 v[166:167], v[89:90], v[25:26], v[115:116]
	v_fma_f64 v[168:169], v[91:92], v[25:26], -v[117:118]
	v_mul_f64 v[23:24], v[103:104], v[23:24]
	v_lshl_or_b32 v0, v0, 4, 0x1000
	global_load_dwordx4 v[85:88], v85, s[8:9]
	s_waitcnt vmcnt(18)
	v_mul_f64 v[25:26], v[101:102], v[19:20]
	v_mul_f64 v[19:20], v[99:100], v[19:20]
	global_load_dwordx4 v[89:92], v0, s[8:9]
	v_bfe_u32 v0, v95, 16, 8
	v_lshl_or_b32 v0, v0, 4, 0x2000
	v_fma_f64 v[142:143], v[103:104], v[21:22], v[107:108]
	s_waitcnt vmcnt(18) lgkmcnt(0)
	v_mul_f64 v[103:104], v[1:2], v[15:16]
	v_fma_f64 v[144:145], v[105:106], v[21:22], -v[23:24]
	v_mul_f64 v[23:24], v[3:4], v[15:16]
	v_fma_f64 v[170:171], v[99:100], v[17:18], v[25:26]
	v_fma_f64 v[178:179], v[101:102], v[17:18], -v[19:20]
	ds_read_b128 v[15:18], v94 offset:9520
	ds_read_b128 v[19:22], v94 offset:7616
	v_fma_f64 v[148:149], v[3:4], v[13:14], -v[103:104]
	v_fma_f64 v[146:147], v[1:2], v[13:14], v[23:24]
	s_waitcnt vmcnt(17) lgkmcnt(1)
	v_mul_f64 v[13:14], v[17:18], v[11:12]
	v_mul_f64 v[11:12], v[15:16], v[11:12]
	ds_read_b128 v[1:4], v94 offset:22848
	v_fma_f64 v[162:163], v[15:16], v[9:10], v[13:14]
	v_fma_f64 v[180:181], v[17:18], v[9:10], -v[11:12]
	ds_read_b128 v[9:12], v94 offset:24752
	s_waitcnt vmcnt(16) lgkmcnt(1)
	v_mul_f64 v[13:14], v[3:4], v[7:8]
	v_mul_f64 v[7:8], v[1:2], v[7:8]
	s_waitcnt vmcnt(14) lgkmcnt(0)
	v_mul_f64 v[15:16], v[9:10], v[43:44]
	v_fma_f64 v[154:155], v[1:2], v[5:6], v[13:14]
	v_fma_f64 v[158:159], v[3:4], v[5:6], -v[7:8]
	v_mul_f64 v[1:2], v[21:22], v[35:36]
	v_mul_f64 v[3:4], v[19:20], v[35:36]
	;; [unrolled: 1-line block ×3, first 2 shown]
	v_fma_f64 v[160:161], v[11:12], v[41:42], -v[15:16]
	v_fma_f64 v[172:173], v[19:20], v[33:34], v[1:2]
	v_fma_f64 v[182:183], v[21:22], v[33:34], -v[3:4]
	ds_read_b128 v[1:4], v94 offset:5712
	ds_read_b128 v[5:8], v94 offset:3808
	v_fma_f64 v[21:22], v[9:10], v[41:42], v[13:14]
	ds_read_b128 v[9:12], v94 offset:26656
	s_waitcnt vmcnt(13) lgkmcnt(2)
	v_mul_f64 v[13:14], v[3:4], v[47:48]
	v_mul_f64 v[15:16], v[1:2], v[47:48]
	v_fma_f64 v[164:165], v[1:2], v[45:46], v[13:14]
	v_fma_f64 v[184:185], v[3:4], v[45:46], -v[15:16]
	ds_read_b128 v[1:4], v94 offset:28560
	s_waitcnt vmcnt(12) lgkmcnt(1)
	v_mul_f64 v[13:14], v[11:12], v[51:52]
	v_mul_f64 v[15:16], v[9:10], v[51:52]
	s_waitcnt vmcnt(10) lgkmcnt(0)
	v_mul_f64 v[17:18], v[1:2], v[63:64]
	v_fma_f64 v[43:44], v[9:10], v[49:50], v[13:14]
	v_fma_f64 v[49:50], v[11:12], v[49:50], -v[15:16]
	v_mul_f64 v[9:10], v[7:8], v[55:56]
	v_mul_f64 v[11:12], v[5:6], v[55:56]
	;; [unrolled: 1-line block ×3, first 2 shown]
	v_fma_f64 v[23:24], v[3:4], v[61:62], -v[17:18]
	v_fma_f64 v[47:48], v[5:6], v[53:54], v[9:10]
	v_fma_f64 v[51:52], v[7:8], v[53:54], -v[11:12]
	ds_read_b128 v[11:14], v94 offset:1904
	ds_read_b128 v[5:8], v94 offset:30464
	v_fma_f64 v[45:46], v[1:2], v[61:62], v[15:16]
	global_load_dwordx4 v[200:203], v0, s[8:9]
	v_bfe_u32 v0, v96, 16, 8
	v_bfe_u32 v1, v31, 16, 8
	ds_read_b128 v[238:241], v94
	v_lshl_or_b32 v0, v0, 4, 0x2000
	v_lshl_or_b32 v1, v1, 4, 0x2000
	s_waitcnt vmcnt(10) lgkmcnt(2)
	v_mul_f64 v[15:16], v[13:14], v[59:60]
	v_mul_f64 v[17:18], v[11:12], v[59:60]
	s_waitcnt vmcnt(9) lgkmcnt(1)
	v_mul_f64 v[9:10], v[7:8], v[39:40]
	v_fma_f64 v[41:42], v[11:12], v[57:58], v[15:16]
	v_fma_f64 v[57:58], v[13:14], v[57:58], -v[17:18]
	v_mul_f64 v[11:12], v[5:6], v[39:40]
	s_waitcnt vmcnt(7)
	v_mul_f64 v[13:14], v[67:68], v[71:72]
	v_fma_f64 v[190:191], v[5:6], v[37:38], v[9:10]
	v_mul_f64 v[15:16], v[65:66], v[71:72]
	v_fma_f64 v[59:60], v[7:8], v[37:38], -v[11:12]
	s_clause 0x1
	global_load_dwordx4 v[5:8], v0, s[8:9]
	global_load_dwordx4 v[9:12], v1, s[8:9]
	v_fma_f64 v[0:1], v[65:66], v[69:70], -v[13:14]
	buffer_store_dword v0, off, s[64:67], 0 offset:92 ; 4-byte Folded Spill
	buffer_store_dword v1, off, s[64:67], 0 offset:96 ; 4-byte Folded Spill
	v_fma_f64 v[0:1], v[67:68], v[69:70], v[15:16]
	buffer_store_dword v0, off, s[64:67], 0 offset:84 ; 4-byte Folded Spill
	buffer_store_dword v1, off, s[64:67], 0 offset:88 ; 4-byte Folded Spill
	s_waitcnt vmcnt(5)
	v_mul_f64 v[25:26], v[29:30], v[83:84]
	v_mul_f64 v[13:14], v[75:76], v[79:80]
	;; [unrolled: 1-line block ×3, first 2 shown]
	v_add_nc_u32_e32 v0, 0xdd, v97
	v_mul_f64 v[33:34], v[27:28], v[83:84]
	v_bfe_u32 v1, v32, 16, 8
	v_mul_lo_u32 v0, v93, v0
	v_lshl_or_b32 v1, v1, 4, 0x2000
	v_bfe_u32 v2, v0, 16, 8
	v_lshl_or_b32 v2, v2, 4, 0x2000
	v_fma_f64 v[108:109], v[27:28], v[81:82], -v[25:26]
	s_waitcnt vmcnt(3)
	v_mul_f64 v[25:26], v[87:88], v[91:92]
	v_mul_f64 v[27:28], v[85:86], v[91:92]
	v_fma_f64 v[106:107], v[73:74], v[77:78], -v[13:14]
	v_fma_f64 v[77:78], v[75:76], v[77:78], v[15:16]
	s_clause 0x1
	global_load_dwordx4 v[13:16], v1, s[8:9]
	global_load_dwordx4 v[17:20], v2, s[8:9]
	v_bfe_u32 v1, v0, 8, 8
	v_lshlrev_b32_sdwa v0, v98, v0 dst_sel:DWORD dst_unused:UNUSED_PAD src0_sel:DWORD src1_sel:BYTE_0
	v_fma_f64 v[111:112], v[29:30], v[81:82], v[33:34]
	v_lshl_or_b32 v1, v1, 4, 0x1000
	v_fma_f64 v[113:114], v[85:86], v[89:90], -v[25:26]
	v_fma_f64 v[115:116], v[87:88], v[89:90], v[27:28]
	s_clause 0x1
	global_load_dwordx4 v[25:28], v0, s[8:9]
	global_load_dwordx4 v[29:32], v1, s[8:9]
	v_add_nc_u32_e32 v0, 0xcc, v97
	v_add_nc_u32_e32 v1, 0xbb, v97
	v_mul_lo_u32 v0, v93, v0
	v_mul_lo_u32 v1, v93, v1
	v_bfe_u32 v2, v0, 8, 8
	v_bfe_u32 v3, v0, 16, 8
	;; [unrolled: 1-line block ×3, first 2 shown]
	v_lshlrev_b32_sdwa v0, v98, v0 dst_sel:DWORD dst_unused:UNUSED_PAD src0_sel:DWORD src1_sel:BYTE_0
	v_lshl_or_b32 v2, v2, 4, 0x1000
	v_lshl_or_b32 v3, v3, 4, 0x2000
	;; [unrolled: 1-line block ×3, first 2 shown]
	s_waitcnt vmcnt(0)
	v_mul_f64 v[33:34], v[27:28], v[31:32]
	v_mul_f64 v[31:32], v[25:26], v[31:32]
	v_fma_f64 v[117:118], v[25:26], v[29:30], -v[33:34]
	v_fma_f64 v[119:120], v[27:28], v[29:30], v[31:32]
	s_clause 0x3
	global_load_dwordx4 v[25:28], v2, s[8:9]
	global_load_dwordx4 v[29:32], v0, s[8:9]
	;; [unrolled: 1-line block ×4, first 2 shown]
	v_bfe_u32 v0, v1, 8, 8
	v_lshlrev_b32_sdwa v1, v98, v1 dst_sel:DWORD dst_unused:UNUSED_PAD src0_sel:DWORD src1_sel:BYTE_0
	v_lshl_or_b32 v0, v0, 4, 0x1000
	s_waitcnt vmcnt(2)
	v_mul_f64 v[33:34], v[31:32], v[27:28]
	v_mul_f64 v[27:28], v[29:30], v[27:28]
	v_fma_f64 v[121:122], v[29:30], v[25:26], -v[33:34]
	v_fma_f64 v[125:126], v[31:32], v[25:26], v[27:28]
	s_clause 0x1
	global_load_dwordx4 v[25:28], v1, s[8:9]
	global_load_dwordx4 v[29:32], v0, s[8:9]
	v_add_nc_u32_e32 v0, 0xaa, v97
	v_add_nc_u32_e32 v1, 0x99, v97
	v_mul_lo_u32 v0, v93, v0
	v_mul_lo_u32 v1, v93, v1
	v_bfe_u32 v2, v0, 8, 8
	v_bfe_u32 v3, v0, 16, 8
	v_bfe_u32 v4, v1, 16, 8
	v_lshlrev_b32_sdwa v0, v98, v0 dst_sel:DWORD dst_unused:UNUSED_PAD src0_sel:DWORD src1_sel:BYTE_0
	v_lshl_or_b32 v2, v2, 4, 0x1000
	v_lshl_or_b32 v3, v3, 4, 0x2000
	;; [unrolled: 1-line block ×3, first 2 shown]
	s_waitcnt vmcnt(0)
	v_mul_f64 v[33:34], v[27:28], v[31:32]
	v_fma_f64 v[132:133], v[25:26], v[29:30], -v[33:34]
	v_mul_f64 v[25:26], v[25:26], v[31:32]
	v_fma_f64 v[134:135], v[27:28], v[29:30], v[25:26]
	s_clause 0x3
	global_load_dwordx4 v[25:28], v2, s[8:9]
	global_load_dwordx4 v[29:32], v0, s[8:9]
	;; [unrolled: 1-line block ×4, first 2 shown]
	v_bfe_u32 v0, v1, 8, 8
	v_lshlrev_b32_sdwa v1, v98, v1 dst_sel:DWORD dst_unused:UNUSED_PAD src0_sel:DWORD src1_sel:BYTE_0
	v_lshl_or_b32 v0, v0, 4, 0x1000
	s_waitcnt vmcnt(2)
	v_mul_f64 v[33:34], v[31:32], v[27:28]
	v_mul_f64 v[27:28], v[29:30], v[27:28]
	v_fma_f64 v[127:128], v[29:30], v[25:26], -v[33:34]
	v_fma_f64 v[123:124], v[31:32], v[25:26], v[27:28]
	s_clause 0x1
	global_load_dwordx4 v[25:28], v1, s[8:9]
	global_load_dwordx4 v[31:34], v0, s[8:9]
	v_add_nc_u32_e32 v0, 0x88, v97
	v_add_nc_u32_e32 v1, 0x77, v97
	v_mul_lo_u32 v0, v93, v0
	v_mul_lo_u32 v1, v93, v1
	v_bfe_u32 v2, v0, 8, 8
	v_bfe_u32 v3, v0, 16, 8
	;; [unrolled: 1-line block ×3, first 2 shown]
	v_lshlrev_b32_sdwa v0, v98, v0 dst_sel:DWORD dst_unused:UNUSED_PAD src0_sel:DWORD src1_sel:BYTE_0
	v_lshl_or_b32 v2, v2, 4, 0x1000
	v_lshl_or_b32 v3, v3, 4, 0x2000
	;; [unrolled: 1-line block ×3, first 2 shown]
	s_waitcnt vmcnt(0)
	v_mul_f64 v[35:36], v[27:28], v[33:34]
	v_fma_f64 v[156:157], v[25:26], v[31:32], -v[35:36]
	v_mul_f64 v[25:26], v[25:26], v[33:34]
	v_fma_f64 v[152:153], v[27:28], v[31:32], v[25:26]
	s_clause 0x3
	global_load_dwordx4 v[31:34], v2, s[8:9]
	global_load_dwordx4 v[53:56], v0, s[8:9]
	global_load_dwordx4 v[85:88], v3, s[8:9]
	global_load_dwordx4 v[226:229], v4, s[8:9]
	v_bfe_u32 v0, v1, 8, 8
	v_lshlrev_b32_sdwa v1, v98, v1 dst_sel:DWORD dst_unused:UNUSED_PAD src0_sel:DWORD src1_sel:BYTE_0
	v_lshl_or_b32 v0, v0, 4, 0x1000
	s_waitcnt vmcnt(2)
	v_mul_f64 v[25:26], v[55:56], v[33:34]
	v_fma_f64 v[204:205], v[53:54], v[31:32], -v[25:26]
	v_mul_f64 v[25:26], v[53:54], v[33:34]
	v_fma_f64 v[196:197], v[55:56], v[31:32], v[25:26]
	s_clause 0x1
	global_load_dwordx4 v[31:34], v1, s[8:9]
	global_load_dwordx4 v[53:56], v0, s[8:9]
	v_add_nc_u32_e32 v0, 0x66, v97
	v_add_nc_u32_e32 v1, 0x55, v97
	v_mul_lo_u32 v0, v93, v0
	v_mul_lo_u32 v1, v93, v1
	v_bfe_u32 v2, v0, 8, 8
	v_bfe_u32 v3, v0, 16, 8
	;; [unrolled: 1-line block ×3, first 2 shown]
	v_lshlrev_b32_sdwa v0, v98, v0 dst_sel:DWORD dst_unused:UNUSED_PAD src0_sel:DWORD src1_sel:BYTE_0
	v_lshl_or_b32 v2, v2, 4, 0x1000
	v_lshl_or_b32 v3, v3, 4, 0x2000
	;; [unrolled: 1-line block ×3, first 2 shown]
	s_waitcnt vmcnt(0)
	v_mul_f64 v[25:26], v[33:34], v[55:56]
	v_fma_f64 v[248:249], v[31:32], v[53:54], -v[25:26]
	v_mul_f64 v[25:26], v[31:32], v[55:56]
	v_fma_f64 v[244:245], v[33:34], v[53:54], v[25:26]
	s_clause 0x3
	global_load_dwordx4 v[31:34], v2, s[8:9]
	global_load_dwordx4 v[61:64], v0, s[8:9]
	;; [unrolled: 1-line block ×4, first 2 shown]
	v_bfe_u32 v0, v1, 8, 8
	v_lshlrev_b32_sdwa v1, v98, v1 dst_sel:DWORD dst_unused:UNUSED_PAD src0_sel:DWORD src1_sel:BYTE_0
	v_lshl_or_b32 v0, v0, 4, 0x1000
	s_waitcnt vmcnt(2)
	v_mul_f64 v[25:26], v[63:64], v[33:34]
	v_fma_f64 v[2:3], v[61:62], v[31:32], -v[25:26]
	v_mul_f64 v[25:26], v[61:62], v[33:34]
	buffer_store_dword v2, off, s[64:67], 0 offset:752 ; 4-byte Folded Spill
	buffer_store_dword v3, off, s[64:67], 0 offset:756 ; 4-byte Folded Spill
	v_fma_f64 v[2:3], v[63:64], v[31:32], v[25:26]
	buffer_store_dword v2, off, s[64:67], 0 offset:768 ; 4-byte Folded Spill
	buffer_store_dword v3, off, s[64:67], 0 offset:772 ; 4-byte Folded Spill
	s_clause 0x1
	global_load_dwordx4 v[31:34], v1, s[8:9]
	global_load_dwordx4 v[61:64], v0, s[8:9]
	s_waitcnt vmcnt(0)
	v_mul_f64 v[25:26], v[33:34], v[63:64]
	v_fma_f64 v[0:1], v[31:32], v[61:62], -v[25:26]
	v_mul_f64 v[25:26], v[31:32], v[63:64]
	buffer_store_dword v0, off, s[64:67], 0 offset:776 ; 4-byte Folded Spill
	buffer_store_dword v1, off, s[64:67], 0 offset:780 ; 4-byte Folded Spill
	v_fma_f64 v[0:1], v[33:34], v[61:62], v[25:26]
	buffer_store_dword v0, off, s[64:67], 0 offset:800 ; 4-byte Folded Spill
	buffer_store_dword v1, off, s[64:67], 0 offset:804 ; 4-byte Folded Spill
	v_add_nc_u32_e32 v0, 0x44, v97
	v_add_nc_u32_e32 v1, 51, v97
	v_mul_lo_u32 v0, v93, v0
	v_mul_lo_u32 v1, v93, v1
	v_bfe_u32 v2, v0, 8, 8
	v_bfe_u32 v3, v0, 16, 8
	;; [unrolled: 1-line block ×3, first 2 shown]
	v_lshlrev_b32_sdwa v0, v98, v0 dst_sel:DWORD dst_unused:UNUSED_PAD src0_sel:DWORD src1_sel:BYTE_0
	v_lshl_or_b32 v2, v2, 4, 0x1000
	v_lshl_or_b32 v3, v3, 4, 0x2000
	;; [unrolled: 1-line block ×3, first 2 shown]
	s_clause 0x3
	global_load_dwordx4 v[31:34], v2, s[8:9]
	global_load_dwordx4 v[69:72], v0, s[8:9]
	;; [unrolled: 1-line block ×4, first 2 shown]
	v_bfe_u32 v0, v1, 8, 8
	v_lshlrev_b32_sdwa v1, v98, v1 dst_sel:DWORD dst_unused:UNUSED_PAD src0_sel:DWORD src1_sel:BYTE_0
	v_lshl_or_b32 v0, v0, 4, 0x1000
	s_waitcnt vmcnt(2)
	v_mul_f64 v[25:26], v[71:72], v[33:34]
	v_fma_f64 v[254:255], v[69:70], v[31:32], -v[25:26]
	v_mul_f64 v[25:26], v[69:70], v[33:34]
	v_fma_f64 v[63:64], v[71:72], v[31:32], v[25:26]
	s_clause 0x1
	global_load_dwordx4 v[31:34], v1, s[8:9]
	global_load_dwordx4 v[69:72], v0, s[8:9]
	v_add_nc_u32_e32 v0, 34, v97
	v_add_nc_u32_e32 v1, 17, v97
	buffer_store_dword v97, off, s[64:67], 0 offset:100 ; 4-byte Folded Spill
	v_mul_lo_u32 v0, v93, v0
	v_mul_lo_u32 v1, v93, v1
	v_bfe_u32 v2, v0, 8, 8
	v_bfe_u32 v3, v0, 16, 8
	;; [unrolled: 1-line block ×3, first 2 shown]
	v_lshlrev_b32_sdwa v0, v98, v0 dst_sel:DWORD dst_unused:UNUSED_PAD src0_sel:DWORD src1_sel:BYTE_0
	v_lshl_or_b32 v2, v2, 4, 0x1000
	v_lshl_or_b32 v3, v3, 4, 0x2000
	;; [unrolled: 1-line block ×3, first 2 shown]
	s_waitcnt vmcnt(0)
	v_mul_f64 v[25:26], v[33:34], v[71:72]
	v_fma_f64 v[216:217], v[31:32], v[69:70], -v[25:26]
	v_mul_f64 v[25:26], v[31:32], v[71:72]
	v_mul_f64 v[31:32], v[132:133], v[75:76]
	v_fma_f64 v[214:215], v[33:34], v[69:70], v[25:26]
	s_clause 0x3
	global_load_dwordx4 v[81:84], v2, s[8:9]
	global_load_dwordx4 v[89:92], v0, s[8:9]
	;; [unrolled: 1-line block ×4, first 2 shown]
	v_lshlrev_b32_sdwa v0, v98, v1 dst_sel:DWORD dst_unused:UNUSED_PAD src0_sel:DWORD src1_sel:BYTE_0
	v_bfe_u32 v1, v1, 8, 8
	v_mov_b32_e32 v2, v47
	v_mov_b32_e32 v3, v48
	v_lshl_or_b32 v1, v1, 4, 0x1000
	s_waitcnt vmcnt(2)
	v_mul_f64 v[25:26], v[91:92], v[83:84]
	v_fma_f64 v[210:211], v[89:90], v[81:82], -v[25:26]
	v_mul_f64 v[25:26], v[89:90], v[83:84]
	v_fma_f64 v[208:209], v[91:92], v[81:82], v[25:26]
	s_clause 0x1
	global_load_dwordx4 v[81:84], v0, s[8:9]
	global_load_dwordx4 v[89:92], v1, s[8:9]
	s_waitcnt vmcnt(0)
	v_mul_f64 v[25:26], v[83:84], v[91:92]
	v_fma_f64 v[0:1], v[81:82], v[89:90], -v[25:26]
	v_mul_f64 v[25:26], v[81:82], v[91:92]
	buffer_store_dword v0, off, s[64:67], 0 offset:112 ; 4-byte Folded Spill
	buffer_store_dword v1, off, s[64:67], 0 offset:116 ; 4-byte Folded Spill
	v_fma_f64 v[0:1], v[83:84], v[89:90], v[25:26]
	v_mul_f64 v[25:26], v[77:78], v[7:8]
	v_mul_f64 v[7:8], v[106:107], v[7:8]
	buffer_store_dword v0, off, s[64:67], 0 offset:120 ; 4-byte Folded Spill
	buffer_store_dword v1, off, s[64:67], 0 offset:124 ; 4-byte Folded Spill
	v_fma_f64 v[25:26], v[5:6], v[106:107], -v[25:26]
	v_fma_f64 v[5:6], v[5:6], v[77:78], v[7:8]
	v_mul_f64 v[7:8], v[111:112], v[11:12]
	v_mul_f64 v[11:12], v[108:109], v[11:12]
	v_fma_f64 v[103:104], v[9:10], v[108:109], -v[7:8]
	v_mov_b32_e32 v7, v41
	v_mov_b32_e32 v8, v42
	buffer_store_dword v7, off, s[64:67], 0 offset:592 ; 4-byte Folded Spill
	buffer_store_dword v8, off, s[64:67], 0 offset:596 ; 4-byte Folded Spill
	;; [unrolled: 1-line block ×8, first 2 shown]
	v_fma_f64 v[105:106], v[9:10], v[111:112], v[11:12]
	v_mul_f64 v[11:12], v[115:116], v[15:16]
	v_mul_f64 v[15:16], v[113:114], v[15:16]
	v_fma_f64 v[91:92], v[13:14], v[113:114], -v[11:12]
	v_fma_f64 v[93:94], v[13:14], v[115:116], v[15:16]
	v_mul_f64 v[15:16], v[119:120], v[19:20]
	v_mul_f64 v[19:20], v[117:118], v[19:20]
	v_fma_f64 v[95:96], v[17:18], v[117:118], -v[15:16]
	v_fma_f64 v[97:98], v[17:18], v[119:120], v[19:20]
	v_mul_f64 v[19:20], v[125:126], v[39:40]
	v_fma_f64 v[186:187], v[37:38], v[121:122], -v[19:20]
	v_mul_f64 v[19:20], v[121:122], v[39:40]
	v_fma_f64 v[188:189], v[37:38], v[125:126], v[19:20]
	v_mul_f64 v[19:20], v[134:135], v[75:76]
	v_fma_f64 v[79:80], v[73:74], v[132:133], -v[19:20]
	v_fma_f64 v[73:74], v[73:74], v[134:135], v[31:32]
	v_add_f64 v[41:42], v[7:8], -v[190:191]
	v_add_f64 v[230:231], v[57:58], v[59:60]
	v_add_f64 v[47:48], v[57:58], -v[59:60]
	v_add_f64 v[246:247], v[7:8], v[190:191]
	v_mul_f64 v[0:1], v[41:42], s[36:37]
	buffer_store_dword v0, off, s[64:67], 0 offset:600 ; 4-byte Folded Spill
	buffer_store_dword v1, off, s[64:67], 0 offset:604 ; 4-byte Folded Spill
	v_mul_f64 v[7:8], v[47:48], s[36:37]
	v_mul_f64 v[212:213], v[47:48], s[40:41]
	;; [unrolled: 1-line block ×4, first 2 shown]
	v_fma_f64 v[31:32], v[230:231], s[10:11], v[0:1]
	v_mov_b32_e32 v0, v45
	v_mov_b32_e32 v1, v46
	buffer_store_dword v0, off, s[64:67], 0 offset:144 ; 4-byte Folded Spill
	buffer_store_dword v1, off, s[64:67], 0 offset:148 ; 4-byte Folded Spill
	;; [unrolled: 1-line block ×8, first 2 shown]
	s_waitcnt lgkmcnt(0)
	v_add_f64 v[31:32], v[240:241], v[31:32]
	v_add_f64 v[33:34], v[2:3], -v[0:1]
	v_add_f64 v[45:46], v[51:52], -v[23:24]
	v_add_f64 v[83:84], v[2:3], v[0:1]
	v_add_f64 v[77:78], v[51:52], v[23:24]
	v_mul_f64 v[51:52], v[47:48], s[30:31]
	v_mul_f64 v[9:10], v[33:34], s[40:41]
	;; [unrolled: 1-line block ×3, first 2 shown]
	buffer_store_dword v9, off, s[64:67], 0 offset:184 ; 4-byte Folded Spill
	buffer_store_dword v10, off, s[64:67], 0 offset:188 ; 4-byte Folded Spill
	;; [unrolled: 1-line block ×6, first 2 shown]
	v_mul_f64 v[192:193], v[45:46], s[52:53]
	v_mul_f64 v[131:132], v[45:46], s[50:51]
	v_fma_f64 v[37:38], v[77:78], s[24:25], v[9:10]
	v_fma_f64 v[39:40], v[83:84], s[24:25], -v[0:1]
	v_mov_b32_e32 v0, v43
	v_mov_b32_e32 v1, v44
	buffer_store_dword v0, off, s[64:67], 0 offset:160 ; 4-byte Folded Spill
	buffer_store_dword v1, off, s[64:67], 0 offset:164 ; 4-byte Folded Spill
	;; [unrolled: 1-line block ×8, first 2 shown]
	v_add_f64 v[31:32], v[37:38], v[31:32]
	v_fma_f64 v[37:38], v[246:247], s[10:11], -v[7:8]
	v_add_f64 v[37:38], v[238:239], v[37:38]
	v_add_f64 v[37:38], v[39:40], v[37:38]
	v_add_f64 v[23:24], v[164:165], -v[0:1]
	v_add_f64 v[43:44], v[184:185], -v[49:50]
	v_add_f64 v[164:165], v[164:165], v[0:1]
	v_add_f64 v[81:82], v[184:185], v[49:50]
	v_mul_f64 v[7:8], v[23:24], s[44:45]
	v_mul_f64 v[0:1], v[43:44], s[44:45]
	buffer_store_dword v7, off, s[64:67], 0 offset:200 ; 4-byte Folded Spill
	buffer_store_dword v8, off, s[64:67], 0 offset:204 ; 4-byte Folded Spill
	buffer_store_dword v0, off, s[64:67], 0 offset:240 ; 4-byte Folded Spill
	buffer_store_dword v1, off, s[64:67], 0 offset:244 ; 4-byte Folded Spill
	buffer_store_dword v21, off, s[64:67], 0 offset:176 ; 4-byte Folded Spill
	buffer_store_dword v22, off, s[64:67], 0 offset:180 ; 4-byte Folded Spill
	buffer_store_dword v172, off, s[64:67], 0 offset:376 ; 4-byte Folded Spill
	buffer_store_dword v173, off, s[64:67], 0 offset:380 ; 4-byte Folded Spill
	buffer_store_dword v160, off, s[64:67], 0 offset:168 ; 4-byte Folded Spill
	buffer_store_dword v161, off, s[64:67], 0 offset:172 ; 4-byte Folded Spill
	buffer_store_dword v182, off, s[64:67], 0 offset:360 ; 4-byte Folded Spill
	buffer_store_dword v183, off, s[64:67], 0 offset:364 ; 4-byte Folded Spill
	v_mul_f64 v[184:185], v[43:44], s[48:49]
	v_mul_f64 v[117:118], v[23:24], s[36:37]
	;; [unrolled: 1-line block ×5, first 2 shown]
	v_fma_f64 v[39:40], v[81:82], s[12:13], v[7:8]
	v_add_f64 v[19:20], v[172:173], -v[21:22]
	v_add_f64 v[29:30], v[182:183], -v[160:161]
	v_add_f64 v[89:90], v[182:183], v[160:161]
	v_add_f64 v[172:173], v[172:173], v[21:22]
	;; [unrolled: 1-line block ×3, first 2 shown]
	v_fma_f64 v[39:40], v[164:165], s[12:13], -v[0:1]
	v_mul_f64 v[2:3], v[19:20], s[38:39]
	buffer_store_dword v2, off, s[64:67], 0 offset:216 ; 4-byte Folded Spill
	buffer_store_dword v3, off, s[64:67], 0 offset:220 ; 4-byte Folded Spill
	v_mul_f64 v[0:1], v[29:30], s[38:39]
	buffer_store_dword v0, off, s[64:67], 0 offset:248 ; 4-byte Folded Spill
	buffer_store_dword v1, off, s[64:67], 0 offset:252 ; 4-byte Folded Spill
	v_add_f64 v[37:38], v[39:40], v[37:38]
	buffer_store_dword v154, off, s[64:67], 0 offset:224 ; 4-byte Folded Spill
	buffer_store_dword v155, off, s[64:67], 0 offset:228 ; 4-byte Folded Spill
	v_mul_f64 v[115:116], v[19:20], s[30:31]
	v_mul_f64 v[121:122], v[29:30], s[30:31]
	;; [unrolled: 1-line block ×3, first 2 shown]
	v_fma_f64 v[39:40], v[89:90], s[20:21], v[2:3]
	v_add_f64 v[31:32], v[39:40], v[31:32]
	v_fma_f64 v[39:40], v[172:173], s[20:21], -v[0:1]
	v_mov_b32_e32 v0, v162
	v_mov_b32_e32 v1, v163
	buffer_store_dword v0, off, s[64:67], 0 offset:400 ; 4-byte Folded Spill
	buffer_store_dword v1, off, s[64:67], 0 offset:404 ; 4-byte Folded Spill
	buffer_store_dword v158, off, s[64:67], 0 offset:208 ; 4-byte Folded Spill
	buffer_store_dword v159, off, s[64:67], 0 offset:212 ; 4-byte Folded Spill
	buffer_store_dword v180, off, s[64:67], 0 offset:392 ; 4-byte Folded Spill
	buffer_store_dword v181, off, s[64:67], 0 offset:396 ; 4-byte Folded Spill
	v_add_f64 v[37:38], v[39:40], v[37:38]
	v_add_f64 v[15:16], v[0:1], -v[154:155]
	v_add_f64 v[27:28], v[180:181], -v[158:159]
	v_add_f64 v[182:183], v[0:1], v[154:155]
	v_add_f64 v[162:163], v[180:181], v[158:159]
	v_mul_f64 v[158:159], v[23:24], s[48:49]
	v_mul_f64 v[2:3], v[15:16], s[26:27]
	buffer_store_dword v2, off, s[64:67], 0 offset:232 ; 4-byte Folded Spill
	buffer_store_dword v3, off, s[64:67], 0 offset:236 ; 4-byte Folded Spill
	v_mul_f64 v[0:1], v[27:28], s[26:27]
	buffer_store_dword v0, off, s[64:67], 0 offset:280 ; 4-byte Folded Spill
	buffer_store_dword v1, off, s[64:67], 0 offset:284 ; 4-byte Folded Spill
	;; [unrolled: 1-line block ×4, first 2 shown]
	v_mul_f64 v[160:161], v[27:28], s[34:35]
	v_mul_f64 v[107:108], v[15:16], s[58:59]
	;; [unrolled: 1-line block ×4, first 2 shown]
	v_fma_f64 v[39:40], v[162:163], s[22:23], v[2:3]
	v_add_f64 v[31:32], v[39:40], v[31:32]
	v_fma_f64 v[39:40], v[182:183], s[22:23], -v[0:1]
	v_mov_b32_e32 v0, v170
	v_mov_b32_e32 v1, v171
	buffer_store_dword v0, off, s[64:67], 0 offset:416 ; 4-byte Folded Spill
	buffer_store_dword v1, off, s[64:67], 0 offset:420 ; 4-byte Folded Spill
	buffer_store_dword v148, off, s[64:67], 0 offset:312 ; 4-byte Folded Spill
	buffer_store_dword v149, off, s[64:67], 0 offset:316 ; 4-byte Folded Spill
	buffer_store_dword v178, off, s[64:67], 0 offset:408 ; 4-byte Folded Spill
	buffer_store_dword v179, off, s[64:67], 0 offset:412 ; 4-byte Folded Spill
	v_add_f64 v[37:38], v[39:40], v[37:38]
	v_add_f64 v[9:10], v[0:1], -v[146:147]
	v_add_f64 v[21:22], v[178:179], -v[148:149]
	v_add_f64 v[190:191], v[0:1], v[146:147]
	v_add_f64 v[170:171], v[178:179], v[148:149]
	v_mul_f64 v[149:150], v[19:20], s[44:45]
	v_mul_f64 v[2:3], v[9:10], s[28:29]
	;; [unrolled: 1-line block ×3, first 2 shown]
	buffer_store_dword v2, off, s[64:67], 0 offset:256 ; 4-byte Folded Spill
	buffer_store_dword v3, off, s[64:67], 0 offset:260 ; 4-byte Folded Spill
	;; [unrolled: 1-line block ×12, first 2 shown]
	v_mul_f64 v[154:155], v[21:22], s[58:59]
	v_mul_f64 v[113:114], v[21:22], s[40:41]
	;; [unrolled: 1-line block ×3, first 2 shown]
	v_fma_f64 v[39:40], v[170:171], s[18:19], v[2:3]
	v_fma_f64 v[35:36], v[190:191], s[18:19], -v[0:1]
	v_add_f64 v[7:8], v[166:167], -v[142:143]
	v_add_f64 v[178:179], v[168:169], v[144:145]
	v_add_f64 v[17:18], v[168:169], -v[144:145]
	v_add_f64 v[194:195], v[166:167], v[142:143]
	v_mul_f64 v[168:169], v[33:34], s[52:53]
	v_mul_f64 v[166:167], v[29:30], s[44:45]
	;; [unrolled: 1-line block ×3, first 2 shown]
	v_add_f64 v[31:32], v[39:40], v[31:32]
	v_add_f64 v[35:36], v[35:36], v[37:38]
	v_mul_f64 v[0:1], v[7:8], s[30:31]
	buffer_store_dword v0, off, s[64:67], 0 offset:264 ; 4-byte Folded Spill
	buffer_store_dword v1, off, s[64:67], 0 offset:268 ; 4-byte Folded Spill
	v_mul_f64 v[232:233], v[7:8], s[56:57]
	v_mul_f64 v[147:148], v[17:18], s[36:37]
	;; [unrolled: 1-line block ×4, first 2 shown]
	v_fma_f64 v[37:38], v[178:179], s[16:17], v[0:1]
	v_mul_f64 v[0:1], v[17:18], s[30:31]
	buffer_store_dword v0, off, s[64:67], 0 offset:296 ; 4-byte Folded Spill
	buffer_store_dword v1, off, s[64:67], 0 offset:300 ; 4-byte Folded Spill
	;; [unrolled: 1-line block ×6, first 2 shown]
	v_add_f64 v[31:32], v[37:38], v[31:32]
	buffer_store_dword v129, off, s[64:67], 0 offset:456 ; 4-byte Folded Spill
	buffer_store_dword v130, off, s[64:67], 0 offset:460 ; 4-byte Folded Spill
	;; [unrolled: 1-line block ×4, first 2 shown]
	v_fma_f64 v[37:38], v[194:195], s[16:17], -v[0:1]
	v_add_f64 v[13:14], v[136:137], -v[140:141]
	v_add_f64 v[198:199], v[136:137], v[140:141]
	v_add_f64 v[180:181], v[129:130], v[138:139]
	v_add_f64 v[11:12], v[129:130], -v[138:139]
	v_mul_f64 v[135:136], v[41:42], s[38:39]
	v_mul_f64 v[129:130], v[41:42], s[26:27]
	;; [unrolled: 1-line block ×4, first 2 shown]
	v_add_f64 v[35:36], v[37:38], v[35:36]
	v_mul_f64 v[0:1], v[13:14], s[34:35]
	buffer_store_dword v0, off, s[64:67], 0 offset:272 ; 4-byte Folded Spill
	buffer_store_dword v1, off, s[64:67], 0 offset:276 ; 4-byte Folded Spill
	v_mul_f64 v[145:146], v[13:14], s[28:29]
	v_mul_f64 v[141:142], v[11:12], s[28:29]
	;; [unrolled: 1-line block ×3, first 2 shown]
	v_fma_f64 v[242:243], v[198:199], s[18:19], v[141:142]
	v_fma_f64 v[37:38], v[180:181], s[14:15], -v[0:1]
	v_mul_f64 v[0:1], v[11:12], s[34:35]
	buffer_store_dword v0, off, s[64:67], 0 offset:304 ; 4-byte Folded Spill
	buffer_store_dword v1, off, s[64:67], 0 offset:308 ; 4-byte Folded Spill
	v_add_f64 v[35:36], v[37:38], v[35:36]
	v_fma_f64 v[37:38], v[198:199], s[14:15], v[0:1]
	v_add_f64 v[31:32], v[37:38], v[31:32]
	v_mul_f64 v[37:38], v[35:36], v[5:6]
	v_mul_f64 v[5:6], v[31:32], v[5:6]
	v_fma_f64 v[2:3], v[31:32], v[25:26], -v[37:38]
	v_fma_f64 v[0:1], v[35:36], v[25:26], v[5:6]
	buffer_store_dword v0, off, s[64:67], 0 offset:4 ; 4-byte Folded Spill
	buffer_store_dword v1, off, s[64:67], 0 offset:8 ; 4-byte Folded Spill
	buffer_store_dword v2, off, s[64:67], 0 offset:12 ; 4-byte Folded Spill
	buffer_store_dword v3, off, s[64:67], 0 offset:16 ; 4-byte Folded Spill
	v_mul_f64 v[0:1], v[41:42], s[40:41]
	buffer_store_dword v0, off, s[64:67], 0 offset:856 ; 4-byte Folded Spill
	buffer_store_dword v1, off, s[64:67], 0 offset:860 ; 4-byte Folded Spill
	v_fma_f64 v[5:6], v[230:231], s[24:25], v[0:1]
	v_mul_f64 v[0:1], v[33:34], s[38:39]
	buffer_store_dword v0, off, s[64:67], 0 offset:544 ; 4-byte Folded Spill
	buffer_store_dword v1, off, s[64:67], 0 offset:548 ; 4-byte Folded Spill
	v_add_f64 v[5:6], v[240:241], v[5:6]
	v_fma_f64 v[25:26], v[77:78], s[20:21], v[0:1]
	v_mul_f64 v[0:1], v[45:46], s[38:39]
	buffer_store_dword v0, off, s[64:67], 0 offset:520 ; 4-byte Folded Spill
	buffer_store_dword v1, off, s[64:67], 0 offset:524 ; 4-byte Folded Spill
	v_add_f64 v[5:6], v[25:26], v[5:6]
	v_fma_f64 v[25:26], v[246:247], s[24:25], -v[212:213]
	v_add_f64 v[25:26], v[238:239], v[25:26]
	v_fma_f64 v[31:32], v[83:84], s[20:21], -v[0:1]
	v_mul_f64 v[0:1], v[23:24], s[28:29]
	buffer_store_dword v0, off, s[64:67], 0 offset:552 ; 4-byte Folded Spill
	buffer_store_dword v1, off, s[64:67], 0 offset:556 ; 4-byte Folded Spill
	v_add_f64 v[25:26], v[31:32], v[25:26]
	v_fma_f64 v[31:32], v[81:82], s[18:19], v[0:1]
	v_mul_f64 v[0:1], v[43:44], s[28:29]
	buffer_store_dword v0, off, s[64:67], 0 offset:536 ; 4-byte Folded Spill
	buffer_store_dword v1, off, s[64:67], 0 offset:540 ; 4-byte Folded Spill
	v_add_f64 v[5:6], v[31:32], v[5:6]
	v_fma_f64 v[31:32], v[164:165], s[18:19], -v[0:1]
	v_mul_f64 v[0:1], v[19:20], s[34:35]
	buffer_store_dword v0, off, s[64:67], 0 offset:560 ; 4-byte Folded Spill
	buffer_store_dword v1, off, s[64:67], 0 offset:564 ; 4-byte Folded Spill
	v_add_f64 v[25:26], v[31:32], v[25:26]
	v_fma_f64 v[31:32], v[89:90], s[14:15], v[0:1]
	v_mul_f64 v[0:1], v[29:30], s[34:35]
	buffer_store_dword v0, off, s[64:67], 0 offset:528 ; 4-byte Folded Spill
	buffer_store_dword v1, off, s[64:67], 0 offset:532 ; 4-byte Folded Spill
	;; [unrolled: 10-line block ×5, first 2 shown]
	v_add_f64 v[5:6], v[31:32], v[5:6]
	v_fma_f64 v[31:32], v[194:195], s[12:13], -v[0:1]
	v_mul_f64 v[0:1], v[13:14], s[46:47]
	buffer_store_dword v0, off, s[64:67], 0 offset:472 ; 4-byte Folded Spill
	buffer_store_dword v1, off, s[64:67], 0 offset:476 ; 4-byte Folded Spill
	v_add_f64 v[25:26], v[31:32], v[25:26]
	v_fma_f64 v[31:32], v[180:181], s[10:11], -v[0:1]
	v_mul_f64 v[0:1], v[11:12], s[46:47]
	buffer_store_dword v0, off, s[64:67], 0 offset:480 ; 4-byte Folded Spill
	buffer_store_dword v1, off, s[64:67], 0 offset:484 ; 4-byte Folded Spill
	v_add_f64 v[25:26], v[31:32], v[25:26]
	v_fma_f64 v[31:32], v[198:199], s[10:11], v[0:1]
	v_add_f64 v[5:6], v[31:32], v[5:6]
	v_mul_f64 v[31:32], v[25:26], v[105:106]
	v_mul_f64 v[35:36], v[5:6], v[105:106]
	v_fma_f64 v[2:3], v[5:6], v[103:104], -v[31:32]
	v_fma_f64 v[31:32], v[246:247], s[12:13], -v[133:134]
	v_fma_f64 v[5:6], v[230:231], s[12:13], v[206:207]
	v_mul_f64 v[105:106], v[11:12], s[42:43]
	v_fma_f64 v[0:1], v[25:26], v[103:104], v[35:36]
	buffer_store_dword v0, off, s[64:67], 0 offset:20 ; 4-byte Folded Spill
	buffer_store_dword v1, off, s[64:67], 0 offset:24 ; 4-byte Folded Spill
	;; [unrolled: 1-line block ×4, first 2 shown]
	v_mul_f64 v[0:1], v[33:34], s[28:29]
	buffer_store_dword v0, off, s[64:67], 0 offset:640 ; 4-byte Folded Spill
	buffer_store_dword v1, off, s[64:67], 0 offset:644 ; 4-byte Folded Spill
	v_add_f64 v[31:32], v[238:239], v[31:32]
	v_add_f64 v[5:6], v[240:241], v[5:6]
	v_mul_f64 v[103:104], v[9:10], s[40:41]
	v_fma_f64 v[25:26], v[77:78], s[18:19], v[0:1]
	v_mul_f64 v[0:1], v[45:46], s[28:29]
	buffer_store_dword v0, off, s[64:67], 0 offset:608 ; 4-byte Folded Spill
	buffer_store_dword v1, off, s[64:67], 0 offset:612 ; 4-byte Folded Spill
	v_add_f64 v[5:6], v[25:26], v[5:6]
	v_mul_f64 v[25:26], v[17:18], s[48:49]
	v_fma_f64 v[35:36], v[83:84], s[18:19], -v[0:1]
	v_mul_f64 v[0:1], v[23:24], s[54:55]
	buffer_store_dword v0, off, s[64:67], 0 offset:648 ; 4-byte Folded Spill
	buffer_store_dword v1, off, s[64:67], 0 offset:652 ; 4-byte Folded Spill
	v_add_f64 v[31:32], v[35:36], v[31:32]
	v_fma_f64 v[35:36], v[81:82], s[14:15], v[0:1]
	v_mul_f64 v[0:1], v[43:44], s[54:55]
	buffer_store_dword v0, off, s[64:67], 0 offset:616 ; 4-byte Folded Spill
	buffer_store_dword v1, off, s[64:67], 0 offset:620 ; 4-byte Folded Spill
	v_add_f64 v[5:6], v[35:36], v[5:6]
	v_fma_f64 v[35:36], v[164:165], s[14:15], -v[0:1]
	v_mul_f64 v[0:1], v[19:20], s[50:51]
	buffer_store_dword v0, off, s[64:67], 0 offset:664 ; 4-byte Folded Spill
	buffer_store_dword v1, off, s[64:67], 0 offset:668 ; 4-byte Folded Spill
	v_add_f64 v[31:32], v[35:36], v[31:32]
	v_fma_f64 v[35:36], v[89:90], s[22:23], v[0:1]
	v_mul_f64 v[0:1], v[29:30], s[50:51]
	buffer_store_dword v0, off, s[64:67], 0 offset:624 ; 4-byte Folded Spill
	buffer_store_dword v1, off, s[64:67], 0 offset:628 ; 4-byte Folded Spill
	v_add_f64 v[5:6], v[35:36], v[5:6]
	;; [unrolled: 10-line block ×5, first 2 shown]
	v_fma_f64 v[35:36], v[194:195], s[20:21], -v[0:1]
	v_mul_f64 v[0:1], v[13:14], s[30:31]
	buffer_store_dword v0, off, s[64:67], 0 offset:696 ; 4-byte Folded Spill
	buffer_store_dword v1, off, s[64:67], 0 offset:700 ; 4-byte Folded Spill
	v_add_f64 v[31:32], v[35:36], v[31:32]
	v_fma_f64 v[35:36], v[180:181], s[16:17], -v[0:1]
	v_mul_f64 v[0:1], v[11:12], s[30:31]
	buffer_store_dword v0, off, s[64:67], 0 offset:704 ; 4-byte Folded Spill
	buffer_store_dword v1, off, s[64:67], 0 offset:708 ; 4-byte Folded Spill
	v_add_f64 v[31:32], v[35:36], v[31:32]
	v_fma_f64 v[35:36], v[198:199], s[16:17], v[0:1]
	v_add_f64 v[5:6], v[35:36], v[5:6]
	v_mul_f64 v[35:36], v[31:32], v[93:94]
	v_mul_f64 v[37:38], v[5:6], v[93:94]
	v_fma_f64 v[2:3], v[5:6], v[91:92], -v[35:36]
	v_mul_f64 v[93:94], v[47:48], s[38:39]
	v_fma_f64 v[0:1], v[31:32], v[91:92], v[37:38]
	buffer_store_dword v0, off, s[64:67], 0 offset:36 ; 4-byte Folded Spill
	buffer_store_dword v1, off, s[64:67], 0 offset:40 ; 4-byte Folded Spill
	;; [unrolled: 1-line block ×4, first 2 shown]
	v_mul_f64 v[0:1], v[33:34], s[34:35]
	buffer_store_dword v0, off, s[64:67], 0 offset:744 ; 4-byte Folded Spill
	buffer_store_dword v1, off, s[64:67], 0 offset:748 ; 4-byte Folded Spill
	v_fma_f64 v[31:32], v[230:231], s[20:21], v[135:136]
	v_mul_f64 v[91:92], v[47:48], s[26:27]
	v_mul_f64 v[37:38], v[29:30], s[56:57]
	v_add_f64 v[31:32], v[240:241], v[31:32]
	v_fma_f64 v[35:36], v[77:78], s[14:15], v[0:1]
	v_mul_f64 v[0:1], v[45:46], s[34:35]
	buffer_store_dword v0, off, s[64:67], 0 offset:728 ; 4-byte Folded Spill
	buffer_store_dword v1, off, s[64:67], 0 offset:732 ; 4-byte Folded Spill
	v_add_f64 v[31:32], v[35:36], v[31:32]
	v_fma_f64 v[35:36], v[246:247], s[20:21], -v[93:94]
	v_add_f64 v[35:36], v[238:239], v[35:36]
	v_fma_f64 v[39:40], v[83:84], s[14:15], -v[0:1]
	v_mul_f64 v[0:1], v[23:24], s[50:51]
	buffer_store_dword v0, off, s[64:67], 0 offset:792 ; 4-byte Folded Spill
	buffer_store_dword v1, off, s[64:67], 0 offset:796 ; 4-byte Folded Spill
	v_add_f64 v[35:36], v[39:40], v[35:36]
	v_mul_f64 v[23:24], v[23:24], s[30:31]
	v_fma_f64 v[39:40], v[81:82], s[22:23], v[0:1]
	v_mul_f64 v[0:1], v[43:44], s[50:51]
	buffer_store_dword v0, off, s[64:67], 0 offset:736 ; 4-byte Folded Spill
	buffer_store_dword v1, off, s[64:67], 0 offset:740 ; 4-byte Folded Spill
	v_add_f64 v[31:32], v[39:40], v[31:32]
	v_fma_f64 v[39:40], v[164:165], s[22:23], -v[0:1]
	v_mul_f64 v[0:1], v[19:20], s[46:47]
	buffer_store_dword v0, off, s[64:67], 0 offset:816 ; 4-byte Folded Spill
	buffer_store_dword v1, off, s[64:67], 0 offset:820 ; 4-byte Folded Spill
	v_add_f64 v[35:36], v[39:40], v[35:36]
	v_mul_f64 v[19:20], v[19:20], s[48:49]
	v_fma_f64 v[39:40], v[89:90], s[10:11], v[0:1]
	v_mul_f64 v[0:1], v[29:30], s[46:47]
	buffer_store_dword v0, off, s[64:67], 0 offset:760 ; 4-byte Folded Spill
	buffer_store_dword v1, off, s[64:67], 0 offset:764 ; 4-byte Folded Spill
	v_add_f64 v[31:32], v[39:40], v[31:32]
	v_mul_f64 v[29:30], v[29:30], s[48:49]
	v_fma_f64 v[39:40], v[172:173], s[10:11], -v[0:1]
	v_mul_f64 v[0:1], v[15:16], s[44:45]
	buffer_store_dword v0, off, s[64:67], 0 offset:832 ; 4-byte Folded Spill
	buffer_store_dword v1, off, s[64:67], 0 offset:836 ; 4-byte Folded Spill
	v_add_f64 v[35:36], v[39:40], v[35:36]
	v_mul_f64 v[15:16], v[15:16], s[28:29]
	v_fma_f64 v[39:40], v[162:163], s[12:13], v[0:1]
	v_mul_f64 v[0:1], v[27:28], s[44:45]
	buffer_store_dword v0, off, s[64:67], 0 offset:784 ; 4-byte Folded Spill
	buffer_store_dword v1, off, s[64:67], 0 offset:788 ; 4-byte Folded Spill
	v_add_f64 v[31:32], v[39:40], v[31:32]
	v_fma_f64 v[39:40], v[182:183], s[12:13], -v[0:1]
	v_mul_f64 v[0:1], v[9:10], s[30:31]
	buffer_store_dword v0, off, s[64:67], 0 offset:864 ; 4-byte Folded Spill
	buffer_store_dword v1, off, s[64:67], 0 offset:868 ; 4-byte Folded Spill
	v_add_f64 v[35:36], v[39:40], v[35:36]
	v_mul_f64 v[9:10], v[9:10], s[42:43]
	v_fma_f64 v[39:40], v[170:171], s[16:17], v[0:1]
	v_mul_f64 v[0:1], v[21:22], s[30:31]
	buffer_store_dword v0, off, s[64:67], 0 offset:808 ; 4-byte Folded Spill
	buffer_store_dword v1, off, s[64:67], 0 offset:812 ; 4-byte Folded Spill
	v_add_f64 v[31:32], v[39:40], v[31:32]
	v_fma_f64 v[39:40], v[190:191], s[16:17], -v[0:1]
	v_mul_f64 v[0:1], v[17:18], s[56:57]
	buffer_store_dword v0, off, s[64:67], 0 offset:824 ; 4-byte Folded Spill
	buffer_store_dword v1, off, s[64:67], 0 offset:828 ; 4-byte Folded Spill
	v_add_f64 v[35:36], v[39:40], v[35:36]
	v_fma_f64 v[39:40], v[178:179], s[18:19], v[232:233]
	v_mul_f64 v[17:18], v[17:18], s[26:27]
	v_add_f64 v[31:32], v[39:40], v[31:32]
	v_fma_f64 v[39:40], v[194:195], s[18:19], -v[0:1]
	v_mul_f64 v[0:1], v[13:14], s[48:49]
	buffer_store_dword v0, off, s[64:67], 0 offset:840 ; 4-byte Folded Spill
	buffer_store_dword v1, off, s[64:67], 0 offset:844 ; 4-byte Folded Spill
	v_add_f64 v[35:36], v[39:40], v[35:36]
	v_fma_f64 v[39:40], v[180:181], s[24:25], -v[0:1]
	v_mul_f64 v[0:1], v[11:12], s[48:49]
	buffer_store_dword v0, off, s[64:67], 0 offset:848 ; 4-byte Folded Spill
	buffer_store_dword v1, off, s[64:67], 0 offset:852 ; 4-byte Folded Spill
	v_add_f64 v[35:36], v[39:40], v[35:36]
	v_fma_f64 v[39:40], v[198:199], s[24:25], v[0:1]
	v_add_f64 v[31:32], v[39:40], v[31:32]
	v_mul_f64 v[39:40], v[35:36], v[97:98]
	v_mul_f64 v[75:76], v[31:32], v[97:98]
	v_fma_f64 v[2:3], v[31:32], v[95:96], -v[39:40]
	v_fma_f64 v[31:32], v[230:231], s[22:23], v[129:130]
	v_fma_f64 v[39:40], v[83:84], s[16:17], -v[192:193]
	v_mul_f64 v[97:98], v[7:8], s[34:35]
	v_mul_f64 v[6:7], v[7:8], s[26:27]
	v_fma_f64 v[0:1], v[35:36], v[95:96], v[75:76]
	v_fma_f64 v[35:36], v[77:78], s[16:17], v[168:169]
	v_add_f64 v[31:32], v[240:241], v[31:32]
	v_fma_f64 v[75:76], v[170:171], s[20:21], v[139:140]
	v_fma_f64 v[95:96], v[178:179], s[10:11], v[137:138]
	buffer_store_dword v0, off, s[64:67], 0 offset:52 ; 4-byte Folded Spill
	buffer_store_dword v1, off, s[64:67], 0 offset:56 ; 4-byte Folded Spill
	;; [unrolled: 1-line block ×4, first 2 shown]
	v_fma_f64 v[2:3], v[180:181], s[18:19], -v[145:146]
	v_add_f64 v[31:32], v[35:36], v[31:32]
	v_fma_f64 v[35:36], v[246:247], s[22:23], -v[91:92]
	v_add_f64 v[35:36], v[238:239], v[35:36]
	v_add_f64 v[35:36], v[39:40], v[35:36]
	v_fma_f64 v[39:40], v[81:82], s[24:25], v[158:159]
	v_add_f64 v[31:32], v[39:40], v[31:32]
	v_fma_f64 v[39:40], v[164:165], s[24:25], -v[184:185]
	v_add_f64 v[35:36], v[39:40], v[35:36]
	v_fma_f64 v[39:40], v[89:90], s[12:13], v[149:150]
	v_add_f64 v[31:32], v[39:40], v[31:32]
	v_fma_f64 v[39:40], v[172:173], s[12:13], -v[166:167]
	;; [unrolled: 4-line block ×3, first 2 shown]
	v_add_f64 v[75:76], v[75:76], v[31:32]
	v_add_f64 v[39:40], v[39:40], v[35:36]
	v_fma_f64 v[31:32], v[190:191], s[20:21], -v[154:155]
	v_mul_f64 v[35:36], v[27:28], s[36:37]
	v_mul_f64 v[27:28], v[27:28], s[28:29]
	v_add_f64 v[0:1], v[95:96], v[75:76]
	v_fma_f64 v[75:76], v[194:195], s[10:11], -v[147:148]
	v_add_f64 v[39:40], v[31:32], v[39:40]
	v_mul_f64 v[95:96], v[41:42], s[28:29]
	v_mul_f64 v[31:32], v[21:22], s[34:35]
	v_mul_f64 v[21:22], v[21:22], s[42:43]
	v_add_f64 v[0:1], v[242:243], v[0:1]
	v_add_f64 v[39:40], v[75:76], v[39:40]
	v_mul_f64 v[75:76], v[47:48], s[28:29]
	v_mul_f64 v[47:48], v[47:48], s[34:35]
	v_add_f64 v[2:3], v[2:3], v[39:40]
	v_mul_f64 v[39:40], v[45:46], s[42:43]
	v_mul_f64 v[45:46], v[45:46], s[46:47]
	;; [unrolled: 1-line block ×4, first 2 shown]
	v_fma_f64 v[4:5], v[0:1], v[186:187], -v[242:243]
	v_fma_f64 v[2:3], v[2:3], v[186:187], v[188:189]
	buffer_store_dword v2, off, s[64:67], 0 offset:68 ; 4-byte Folded Spill
	buffer_store_dword v3, off, s[64:67], 0 offset:72 ; 4-byte Folded Spill
	;; [unrolled: 1-line block ×4, first 2 shown]
	v_fma_f64 v[2:3], v[230:231], s[18:19], v[95:96]
	v_mul_f64 v[242:243], v[33:34], s[50:51]
	v_fma_f64 v[188:189], v[83:84], s[22:23], -v[131:132]
	v_mul_f64 v[4:5], v[13:14], s[26:27]
	v_mul_f64 v[0:1], v[11:12], s[26:27]
	v_mul_f64 v[13:14], v[13:14], s[58:59]
	v_mul_f64 v[11:12], v[11:12], s[58:59]
	v_add_f64 v[2:3], v[240:241], v[2:3]
	v_fma_f64 v[186:187], v[77:78], s[22:23], v[242:243]
	v_add_f64 v[2:3], v[186:187], v[2:3]
	v_fma_f64 v[186:187], v[246:247], s[18:19], -v[75:76]
	v_add_f64 v[186:187], v[238:239], v[186:187]
	v_add_f64 v[186:187], v[188:189], v[186:187]
	v_fma_f64 v[188:189], v[81:82], s[10:11], v[117:118]
	v_add_f64 v[2:3], v[188:189], v[2:3]
	v_fma_f64 v[188:189], v[164:165], s[10:11], -v[125:126]
	v_add_f64 v[186:187], v[188:189], v[186:187]
	v_fma_f64 v[188:189], v[89:90], s[16:17], v[115:116]
	v_add_f64 v[2:3], v[188:189], v[2:3]
	v_fma_f64 v[188:189], v[172:173], s[16:17], -v[121:122]
	;; [unrolled: 4-line block ×3, first 2 shown]
	v_add_f64 v[186:187], v[188:189], v[186:187]
	v_fma_f64 v[188:189], v[170:171], s[24:25], v[103:104]
	v_add_f64 v[2:3], v[188:189], v[2:3]
	v_fma_f64 v[188:189], v[178:179], s[14:15], v[97:98]
	v_add_f64 v[2:3], v[188:189], v[2:3]
	v_fma_f64 v[188:189], v[190:191], s[24:25], -v[113:114]
	v_add_f64 v[186:187], v[188:189], v[186:187]
	v_fma_f64 v[188:189], v[194:195], s[14:15], -v[111:112]
	;; [unrolled: 2-line block ×3, first 2 shown]
	v_add_f64 v[186:187], v[188:189], v[186:187]
	v_fma_f64 v[188:189], v[198:199], s[12:13], v[105:106]
	v_add_f64 v[2:3], v[188:189], v[2:3]
	v_mul_f64 v[188:189], v[186:187], v[73:74]
	v_mul_f64 v[73:74], v[2:3], v[73:74]
	v_fma_f64 v[188:189], v[2:3], v[79:80], -v[188:189]
	v_mul_f64 v[2:3], v[123:124], v[176:177]
	v_fma_f64 v[186:187], v[186:187], v[79:80], v[73:74]
	v_mul_f64 v[73:74], v[127:128], v[176:177]
	v_mul_f64 v[79:80], v[41:42], s[30:31]
	v_fma_f64 v[2:3], v[174:175], v[127:128], -v[2:3]
	v_mul_f64 v[127:128], v[33:34], s[42:43]
	v_fma_f64 v[176:177], v[83:84], s[12:13], -v[39:40]
	v_mul_f64 v[33:34], v[33:34], s[46:47]
	v_fma_f64 v[73:74], v[174:175], v[123:124], v[73:74]
	v_fma_f64 v[123:124], v[230:231], s[16:17], v[79:80]
	;; [unrolled: 1-line block ×3, first 2 shown]
	v_add_f64 v[123:124], v[240:241], v[123:124]
	v_add_f64 v[123:124], v[174:175], v[123:124]
	v_fma_f64 v[174:175], v[81:82], s[20:21], v[61:62]
	v_add_f64 v[123:124], v[174:175], v[123:124]
	v_fma_f64 v[174:175], v[89:90], s[18:19], v[59:60]
	;; [unrolled: 2-line block ×5, first 2 shown]
	v_add_f64 v[123:124], v[174:175], v[123:124]
	v_fma_f64 v[174:175], v[246:247], s[16:17], -v[51:52]
	v_add_f64 v[174:175], v[238:239], v[174:175]
	v_add_f64 v[174:175], v[176:177], v[174:175]
	v_fma_f64 v[176:177], v[164:165], s[20:21], -v[49:50]
	v_add_f64 v[174:175], v[176:177], v[174:175]
	v_fma_f64 v[176:177], v[172:173], s[18:19], -v[37:38]
	;; [unrolled: 2-line block ×6, first 2 shown]
	v_fma_f64 v[4:5], v[180:181], s[22:23], v[4:5]
	v_add_f64 v[174:175], v[176:177], v[174:175]
	v_fma_f64 v[176:177], v[198:199], s[22:23], v[0:1]
	v_fma_f64 v[0:1], v[198:199], s[22:23], -v[0:1]
	v_add_f64 v[123:124], v[176:177], v[123:124]
	v_mul_f64 v[176:177], v[174:175], v[73:74]
	v_mul_f64 v[73:74], v[123:124], v[73:74]
	v_fma_f64 v[176:177], v[123:124], v[2:3], -v[176:177]
	v_fma_f64 v[123:124], v[83:84], s[10:11], -v[45:46]
	v_fma_f64 v[174:175], v[174:175], v[2:3], v[73:74]
	v_mul_f64 v[2:3], v[152:153], v[101:102]
	v_mul_f64 v[73:74], v[156:157], v[101:102]
	v_fma_f64 v[101:102], v[77:78], s[10:11], v[33:34]
	v_fma_f64 v[33:34], v[77:78], s[10:11], -v[33:34]
	v_fma_f64 v[2:3], v[99:100], v[156:157], -v[2:3]
	v_fma_f64 v[73:74], v[99:100], v[152:153], v[73:74]
	v_mul_f64 v[99:100], v[41:42], s[34:35]
	v_fma_f64 v[41:42], v[230:231], s[14:15], v[99:100]
	v_add_f64 v[41:42], v[240:241], v[41:42]
	v_add_f64 v[41:42], v[101:102], v[41:42]
	v_fma_f64 v[101:102], v[81:82], s[16:17], v[23:24]
	v_fma_f64 v[23:24], v[81:82], s[16:17], -v[23:24]
	v_add_f64 v[41:42], v[101:102], v[41:42]
	v_fma_f64 v[101:102], v[89:90], s[24:25], v[19:20]
	v_fma_f64 v[19:20], v[89:90], s[24:25], -v[19:20]
	v_add_f64 v[41:42], v[101:102], v[41:42]
	v_fma_f64 v[101:102], v[162:163], s[18:19], v[15:16]
	v_fma_f64 v[15:16], v[162:163], s[18:19], -v[15:16]
	v_add_f64 v[41:42], v[101:102], v[41:42]
	v_fma_f64 v[101:102], v[170:171], s[12:13], v[9:10]
	v_fma_f64 v[8:9], v[170:171], s[12:13], -v[9:10]
	v_add_f64 v[41:42], v[101:102], v[41:42]
	v_fma_f64 v[101:102], v[178:179], s[22:23], v[6:7]
	v_fma_f64 v[6:7], v[178:179], s[22:23], -v[6:7]
	v_add_f64 v[41:42], v[101:102], v[41:42]
	v_fma_f64 v[101:102], v[246:247], s[14:15], -v[47:48]
	v_add_f64 v[101:102], v[238:239], v[101:102]
	v_add_f64 v[101:102], v[123:124], v[101:102]
	v_mul_f64 v[123:124], v[43:44], s[30:31]
	v_fma_f64 v[43:44], v[164:165], s[16:17], -v[123:124]
	v_add_f64 v[43:44], v[43:44], v[101:102]
	v_fma_f64 v[101:102], v[172:173], s[24:25], -v[29:30]
	v_add_f64 v[43:44], v[101:102], v[43:44]
	;; [unrolled: 2-line block ×5, first 2 shown]
	v_fma_f64 v[101:102], v[180:181], s[20:21], -v[13:14]
	v_fma_f64 v[13:14], v[180:181], s[20:21], v[13:14]
	v_add_f64 v[101:102], v[101:102], v[43:44]
	v_fma_f64 v[43:44], v[198:199], s[20:21], v[11:12]
	v_fma_f64 v[10:11], v[198:199], s[20:21], -v[11:12]
	v_add_f64 v[41:42], v[43:44], v[41:42]
	v_mul_f64 v[43:44], v[101:102], v[73:74]
	v_mul_f64 v[73:74], v[41:42], v[73:74]
	v_fma_f64 v[43:44], v[41:42], v[2:3], -v[43:44]
	v_fma_f64 v[41:42], v[101:102], v[2:3], v[73:74]
	v_mul_f64 v[2:3], v[196:197], v[87:88]
	v_mul_f64 v[73:74], v[204:205], v[87:88]
	v_fma_f64 v[2:3], v[85:86], v[204:205], -v[2:3]
	v_fma_f64 v[73:74], v[85:86], v[196:197], v[73:74]
	v_fma_f64 v[85:86], v[230:231], s[14:15], -v[99:100]
	v_add_f64 v[85:86], v[240:241], v[85:86]
	v_add_f64 v[33:34], v[33:34], v[85:86]
	;; [unrolled: 1-line block ×3, first 2 shown]
	v_fma_f64 v[33:34], v[230:231], s[18:19], -v[95:96]
	v_add_f64 v[19:20], v[19:20], v[23:24]
	v_add_f64 v[33:34], v[240:241], v[33:34]
	;; [unrolled: 1-line block ×4, first 2 shown]
	v_fma_f64 v[15:16], v[83:84], s[10:11], v[45:46]
	v_add_f64 v[6:7], v[6:7], v[8:9]
	v_fma_f64 v[8:9], v[246:247], s[14:15], v[47:48]
	v_add_f64 v[6:7], v[10:11], v[6:7]
	v_add_f64 v[8:9], v[238:239], v[8:9]
	;; [unrolled: 1-line block ×3, first 2 shown]
	v_fma_f64 v[15:16], v[164:165], s[16:17], v[123:124]
	v_add_f64 v[8:9], v[15:16], v[8:9]
	v_fma_f64 v[15:16], v[172:173], s[24:25], v[29:30]
	v_add_f64 v[8:9], v[15:16], v[8:9]
	v_fma_f64 v[15:16], v[182:183], s[18:19], v[27:28]
	v_mov_b32_e32 v28, 0x227
	v_add_f64 v[8:9], v[15:16], v[8:9]
	v_fma_f64 v[15:16], v[190:191], s[12:13], v[21:22]
	v_fma_f64 v[20:21], v[246:247], s[22:23], v[91:92]
	;; [unrolled: 1-line block ×3, first 2 shown]
	v_add_f64 v[8:9], v[15:16], v[8:9]
	v_fma_f64 v[15:16], v[194:195], s[22:23], v[17:18]
	v_add_f64 v[20:21], v[238:239], v[20:21]
	v_add_f64 v[22:23], v[238:239], v[22:23]
	;; [unrolled: 1-line block ×4, first 2 shown]
	v_mul_f64 v[12:13], v[6:7], v[73:74]
	v_mul_f64 v[14:15], v[214:215], v[224:225]
	;; [unrolled: 1-line block ×3, first 2 shown]
	v_fma_f64 v[45:46], v[8:9], v[2:3], v[12:13]
	v_fma_f64 v[8:9], v[230:231], s[16:17], -v[79:80]
	v_fma_f64 v[16:17], v[222:223], v[216:217], -v[14:15]
	v_mul_f64 v[14:15], v[210:211], v[71:72]
	v_fma_f64 v[12:13], v[83:84], s[12:13], v[39:40]
	v_fma_f64 v[39:40], v[230:231], s[12:13], -v[206:207]
	v_fma_f64 v[47:48], v[6:7], v[2:3], -v[10:11]
	;; [unrolled: 1-line block ×3, first 2 shown]
	v_add_f64 v[8:9], v[240:241], v[8:9]
	v_mul_f64 v[6:7], v[248:249], v[228:229]
	v_fma_f64 v[18:19], v[69:70], v[208:209], v[14:15]
	v_mul_f64 v[14:15], v[208:209], v[71:72]
	v_mul_f64 v[2:3], v[244:245], v[228:229]
	v_add_f64 v[39:40], v[240:241], v[39:40]
	v_add_f64 v[8:9], v[10:11], v[8:9]
	v_fma_f64 v[10:11], v[81:82], s[20:21], -v[61:62]
	v_fma_f64 v[61:62], v[77:78], s[22:23], -v[242:243]
	;; [unrolled: 1-line block ×3, first 2 shown]
	v_fma_f64 v[14:15], v[246:247], s[18:19], v[75:76]
	v_fma_f64 v[6:7], v[226:227], v[244:245], v[6:7]
	v_fma_f64 v[2:3], v[226:227], v[248:249], -v[2:3]
	v_add_f64 v[8:9], v[10:11], v[8:9]
	v_add_f64 v[33:34], v[61:62], v[33:34]
	v_fma_f64 v[61:62], v[81:82], s[10:11], -v[117:118]
	v_fma_f64 v[10:11], v[89:90], s[18:19], -v[59:60]
	v_add_f64 v[14:15], v[238:239], v[14:15]
	v_add_f64 v[33:34], v[61:62], v[33:34]
	v_fma_f64 v[61:62], v[89:90], s[16:17], -v[115:116]
	v_add_f64 v[8:9], v[10:11], v[8:9]
	v_fma_f64 v[10:11], v[162:163], s[10:11], -v[57:58]
	;; [unrolled: 2-line block ×7, first 2 shown]
	v_add_f64 v[8:9], v[10:11], v[8:9]
	v_fma_f64 v[10:11], v[246:247], s[16:17], v[51:52]
	v_add_f64 v[33:34], v[61:62], v[33:34]
	v_fma_f64 v[61:62], v[83:84], s[22:23], v[131:132]
	v_add_f64 v[10:11], v[238:239], v[10:11]
	v_add_f64 v[0:1], v[0:1], v[8:9]
	;; [unrolled: 1-line block ×3, first 2 shown]
	v_fma_f64 v[61:62], v[164:165], s[10:11], v[125:126]
	v_add_f64 v[10:11], v[12:13], v[10:11]
	v_fma_f64 v[12:13], v[164:165], s[20:21], v[49:50]
	v_add_f64 v[14:15], v[61:62], v[14:15]
	;; [unrolled: 2-line block ×3, first 2 shown]
	v_fma_f64 v[12:13], v[172:173], s[18:19], v[37:38]
	v_fma_f64 v[37:38], v[230:231], s[20:21], -v[135:136]
	v_add_f64 v[14:15], v[61:62], v[14:15]
	v_fma_f64 v[61:62], v[182:183], s[20:21], v[119:120]
	v_add_f64 v[10:11], v[12:13], v[10:11]
	v_fma_f64 v[12:13], v[182:183], s[10:11], v[35:36]
	v_fma_f64 v[35:36], v[230:231], s[22:23], -v[129:130]
	v_add_f64 v[37:38], v[240:241], v[37:38]
	v_add_f64 v[14:15], v[61:62], v[14:15]
	v_fma_f64 v[61:62], v[190:191], s[24:25], v[113:114]
	v_add_f64 v[10:11], v[12:13], v[10:11]
	v_add_f64 v[35:36], v[240:241], v[35:36]
	v_fma_f64 v[12:13], v[190:191], s[14:15], v[31:32]
	v_add_f64 v[14:15], v[61:62], v[14:15]
	v_fma_f64 v[61:62], v[194:195], s[14:15], v[111:112]
	v_add_f64 v[10:11], v[12:13], v[10:11]
	v_fma_f64 v[12:13], v[194:195], s[24:25], v[25:26]
	v_fma_f64 v[24:25], v[246:247], s[12:13], v[133:134]
	v_fma_f64 v[26:27], v[246:247], s[24:25], v[212:213]
	v_add_f64 v[14:15], v[61:62], v[14:15]
	v_fma_f64 v[61:62], v[180:181], s[12:13], v[109:110]
	v_add_f64 v[10:11], v[12:13], v[10:11]
	v_add_f64 v[24:25], v[238:239], v[24:25]
	v_add_f64 v[26:27], v[238:239], v[26:27]
	v_add_f64 v[14:15], v[61:62], v[14:15]
	v_fma_f64 v[61:62], v[198:199], s[12:13], -v[105:106]
	v_add_f64 v[4:5], v[4:5], v[10:11]
	v_mul_f64 v[10:11], v[63:64], v[67:68]
	v_add_f64 v[33:34], v[61:62], v[33:34]
	v_fma_f64 v[61:62], v[77:78], s[16:17], -v[168:169]
	v_mul_f64 v[8:9], v[4:5], v[6:7]
	v_mul_f64 v[6:7], v[0:1], v[6:7]
	v_fma_f64 v[12:13], v[65:66], v[254:255], -v[10:11]
	v_mul_f64 v[10:11], v[216:217], v[224:225]
	v_add_f64 v[35:36], v[61:62], v[35:36]
	v_fma_f64 v[61:62], v[81:82], s[24:25], -v[158:159]
	v_fma_f64 v[51:52], v[0:1], v[2:3], -v[8:9]
	v_fma_f64 v[49:50], v[4:5], v[2:3], v[6:7]
	s_clause 0x11
	buffer_load_dword v4, off, s[64:67], 0 offset:768
	buffer_load_dword v5, off, s[64:67], 0 offset:772
	buffer_load_dword v2, off, s[64:67], 0 offset:752
	buffer_load_dword v3, off, s[64:67], 0 offset:756
	buffer_load_dword v8, off, s[64:67], 0 offset:776
	buffer_load_dword v9, off, s[64:67], 0 offset:780
	buffer_load_dword v6, off, s[64:67], 0 offset:800
	buffer_load_dword v7, off, s[64:67], 0 offset:804
	buffer_load_dword v31, off, s[64:67], 0 offset:680
	buffer_load_dword v32, off, s[64:67], 0 offset:684
	buffer_load_dword v53, off, s[64:67], 0 offset:856
	buffer_load_dword v54, off, s[64:67], 0 offset:860
	buffer_load_dword v55, off, s[64:67], 0 offset:600
	buffer_load_dword v56, off, s[64:67], 0 offset:604
	buffer_load_dword v57, off, s[64:67], 0 offset:592
	buffer_load_dword v58, off, s[64:67], 0 offset:596
	buffer_load_dword v59, off, s[64:67], 0 offset:584
	buffer_load_dword v60, off, s[64:67], 0 offset:588
	v_fma_f64 v[10:11], v[222:223], v[214:215], v[10:11]
	v_add_f64 v[35:36], v[61:62], v[35:36]
	v_fma_f64 v[61:62], v[89:90], s[12:13], -v[149:150]
	v_add_f64 v[35:36], v[61:62], v[35:36]
	v_fma_f64 v[61:62], v[162:163], s[14:15], -v[143:144]
	;; [unrolled: 2-line block ×4, first 2 shown]
	v_add_f64 v[35:36], v[61:62], v[35:36]
	v_fma_f64 v[61:62], v[83:84], s[16:17], v[192:193]
	v_add_f64 v[20:21], v[61:62], v[20:21]
	v_fma_f64 v[61:62], v[164:165], s[24:25], v[184:185]
	;; [unrolled: 2-line block ×7, first 2 shown]
	v_add_f64 v[20:21], v[61:62], v[20:21]
	v_fma_f64 v[61:62], v[198:199], s[18:19], -v[141:142]
	v_add_f64 v[35:36], v[61:62], v[35:36]
	s_clause 0x1
	buffer_load_dword v61, off, s[64:67], 0 offset:744
	buffer_load_dword v62, off, s[64:67], 0 offset:748
	s_waitcnt vmcnt(18)
	v_mul_f64 v[0:1], v[4:5], v[236:237]
	s_waitcnt vmcnt(10)
	v_fma_f64 v[31:32], v[246:247], s[10:11], v[31:32]
	s_waitcnt vmcnt(8)
	v_fma_f64 v[53:54], v[230:231], s[24:25], -v[53:54]
	s_waitcnt vmcnt(6)
	v_fma_f64 v[55:56], v[230:231], s[10:11], -v[55:56]
	s_waitcnt vmcnt(4)
	v_add_f64 v[57:58], v[238:239], v[57:58]
	s_waitcnt vmcnt(2)
	v_add_f64 v[59:60], v[240:241], v[59:60]
	v_fma_f64 v[0:1], v[234:235], v[2:3], -v[0:1]
	v_mul_f64 v[2:3], v[2:3], v[236:237]
	v_add_f64 v[31:32], v[238:239], v[31:32]
	v_add_f64 v[53:54], v[240:241], v[53:54]
	;; [unrolled: 1-line block ×3, first 2 shown]
	v_fma_f64 v[2:3], v[234:235], v[4:5], v[2:3]
	v_mul_f64 v[4:5], v[8:9], v[252:253]
	v_fma_f64 v[4:5], v[250:251], v[6:7], v[4:5]
	v_mul_f64 v[6:7], v[6:7], v[252:253]
	v_fma_f64 v[8:9], v[250:251], v[8:9], -v[6:7]
	v_mul_f64 v[6:7], v[254:255], v[67:68]
	v_fma_f64 v[6:7], v[65:66], v[63:64], v[6:7]
	s_waitcnt vmcnt(0)
	v_fma_f64 v[61:62], v[77:78], s[14:15], -v[61:62]
	v_add_f64 v[37:38], v[61:62], v[37:38]
	s_clause 0x1
	buffer_load_dword v61, off, s[64:67], 0 offset:792
	buffer_load_dword v62, off, s[64:67], 0 offset:796
	s_waitcnt vmcnt(0)
	v_fma_f64 v[61:62], v[81:82], s[22:23], -v[61:62]
	v_add_f64 v[37:38], v[61:62], v[37:38]
	s_clause 0x1
	buffer_load_dword v61, off, s[64:67], 0 offset:816
	buffer_load_dword v62, off, s[64:67], 0 offset:820
	;; [unrolled: 6-line block ×4, first 2 shown]
	s_waitcnt vmcnt(0)
	v_fma_f64 v[61:62], v[170:171], s[16:17], -v[61:62]
	v_add_f64 v[37:38], v[61:62], v[37:38]
	v_fma_f64 v[61:62], v[178:179], s[18:19], -v[232:233]
	v_add_f64 v[37:38], v[61:62], v[37:38]
	s_clause 0x1
	buffer_load_dword v61, off, s[64:67], 0 offset:728
	buffer_load_dword v62, off, s[64:67], 0 offset:732
	s_waitcnt vmcnt(0)
	v_fma_f64 v[61:62], v[83:84], s[14:15], v[61:62]
	v_add_f64 v[22:23], v[61:62], v[22:23]
	s_clause 0x1
	buffer_load_dword v61, off, s[64:67], 0 offset:736
	buffer_load_dword v62, off, s[64:67], 0 offset:740
	s_waitcnt vmcnt(0)
	v_fma_f64 v[61:62], v[164:165], s[22:23], v[61:62]
	;; [unrolled: 6-line block ×7, first 2 shown]
	v_add_f64 v[22:23], v[61:62], v[22:23]
	s_clause 0x1
	buffer_load_dword v61, off, s[64:67], 0 offset:848
	buffer_load_dword v62, off, s[64:67], 0 offset:852
	s_waitcnt vmcnt(0)
	v_fma_f64 v[61:62], v[198:199], s[24:25], -v[61:62]
	v_add_f64 v[37:38], v[61:62], v[37:38]
	s_clause 0x1
	buffer_load_dword v61, off, s[64:67], 0 offset:640
	buffer_load_dword v62, off, s[64:67], 0 offset:644
	s_waitcnt vmcnt(0)
	v_fma_f64 v[61:62], v[77:78], s[18:19], -v[61:62]
	;; [unrolled: 6-line block ×7, first 2 shown]
	v_add_f64 v[39:40], v[61:62], v[39:40]
	s_clause 0x1
	buffer_load_dword v61, off, s[64:67], 0 offset:608
	buffer_load_dword v62, off, s[64:67], 0 offset:612
	s_waitcnt vmcnt(0)
	v_fma_f64 v[61:62], v[83:84], s[18:19], v[61:62]
	v_add_f64 v[24:25], v[61:62], v[24:25]
	s_clause 0x1
	buffer_load_dword v61, off, s[64:67], 0 offset:616
	buffer_load_dword v62, off, s[64:67], 0 offset:620
	s_waitcnt vmcnt(0)
	v_fma_f64 v[61:62], v[164:165], s[14:15], v[61:62]
	;; [unrolled: 6-line block ×7, first 2 shown]
	v_add_f64 v[24:25], v[61:62], v[24:25]
	s_clause 0x1
	buffer_load_dword v61, off, s[64:67], 0 offset:704
	buffer_load_dword v62, off, s[64:67], 0 offset:708
	s_waitcnt vmcnt(0)
	v_fma_f64 v[61:62], v[198:199], s[16:17], -v[61:62]
	v_add_f64 v[39:40], v[61:62], v[39:40]
	s_clause 0x1
	buffer_load_dword v61, off, s[64:67], 0 offset:336
	buffer_load_dword v62, off, s[64:67], 0 offset:340
	v_mul_f64 v[87:88], v[39:40], v[10:11]
	s_waitcnt vmcnt(0)
	v_add_f64 v[57:58], v[57:58], v[61:62]
	s_clause 0x1
	buffer_load_dword v61, off, s[64:67], 0 offset:328
	buffer_load_dword v62, off, s[64:67], 0 offset:332
	s_waitcnt vmcnt(0)
	v_add_f64 v[59:60], v[59:60], v[61:62]
	s_clause 0x1
	buffer_load_dword v61, off, s[64:67], 0 offset:544
	buffer_load_dword v62, off, s[64:67], 0 offset:548
	s_waitcnt vmcnt(0)
	v_fma_f64 v[61:62], v[77:78], s[20:21], -v[61:62]
	v_add_f64 v[53:54], v[61:62], v[53:54]
	s_clause 0x1
	buffer_load_dword v61, off, s[64:67], 0 offset:352
	buffer_load_dword v62, off, s[64:67], 0 offset:356
	s_waitcnt vmcnt(0)
	v_add_f64 v[57:58], v[57:58], v[61:62]
	s_clause 0x1
	buffer_load_dword v61, off, s[64:67], 0 offset:344
	buffer_load_dword v62, off, s[64:67], 0 offset:348
	s_waitcnt vmcnt(0)
	v_add_f64 v[59:60], v[59:60], v[61:62]
	s_clause 0x1
	buffer_load_dword v61, off, s[64:67], 0 offset:552
	buffer_load_dword v62, off, s[64:67], 0 offset:556
	s_waitcnt vmcnt(0)
	v_fma_f64 v[61:62], v[81:82], s[18:19], -v[61:62]
	v_add_f64 v[53:54], v[61:62], v[53:54]
	s_clause 0x1
	buffer_load_dword v61, off, s[64:67], 0 offset:376
	buffer_load_dword v62, off, s[64:67], 0 offset:380
	;; [unrolled: 16-line block ×5, first 2 shown]
	s_waitcnt vmcnt(0)
	v_add_f64 v[57:58], v[57:58], v[61:62]
	s_clause 0x1
	buffer_load_dword v61, off, s[64:67], 0 offset:424
	buffer_load_dword v62, off, s[64:67], 0 offset:428
	s_waitcnt vmcnt(0)
	v_add_f64 v[59:60], v[59:60], v[61:62]
	s_clause 0x1
	buffer_load_dword v61, off, s[64:67], 0 offset:520
	buffer_load_dword v62, off, s[64:67], 0 offset:524
	s_waitcnt vmcnt(0)
	v_fma_f64 v[61:62], v[83:84], s[20:21], v[61:62]
	v_add_f64 v[26:27], v[61:62], v[26:27]
	s_clause 0x1
	buffer_load_dword v61, off, s[64:67], 0 offset:456
	buffer_load_dword v62, off, s[64:67], 0 offset:460
	s_waitcnt vmcnt(0)
	v_add_f64 v[57:58], v[57:58], v[61:62]
	s_clause 0x1
	buffer_load_dword v61, off, s[64:67], 0 offset:464
	buffer_load_dword v62, off, s[64:67], 0 offset:468
	s_waitcnt vmcnt(0)
	;; [unrolled: 5-line block ×3, first 2 shown]
	v_fma_f64 v[61:62], v[164:165], s[18:19], v[61:62]
	v_add_f64 v[26:27], v[61:62], v[26:27]
	s_clause 0x5
	buffer_load_dword v61, off, s[64:67], 0 offset:184
	buffer_load_dword v62, off, s[64:67], 0 offset:188
	;; [unrolled: 1-line block ×6, first 2 shown]
	s_waitcnt vmcnt(4)
	v_fma_f64 v[61:62], v[77:78], s[24:25], -v[61:62]
	s_waitcnt vmcnt(2)
	v_fma_f64 v[63:64], v[83:84], s[24:25], v[63:64]
	s_waitcnt vmcnt(0)
	v_add_f64 v[57:58], v[57:58], v[65:66]
	s_clause 0x1
	buffer_load_dword v65, off, s[64:67], 0 offset:440
	buffer_load_dword v66, off, s[64:67], 0 offset:444
	v_mul_f64 v[83:84], v[37:38], v[6:7]
	v_add_f64 v[55:56], v[61:62], v[55:56]
	v_add_f64 v[31:32], v[63:64], v[31:32]
	s_waitcnt vmcnt(0)
	v_add_f64 v[59:60], v[59:60], v[65:66]
	s_clause 0x1
	buffer_load_dword v65, off, s[64:67], 0 offset:528
	buffer_load_dword v66, off, s[64:67], 0 offset:532
	s_waitcnt vmcnt(0)
	v_fma_f64 v[65:66], v[172:173], s[14:15], v[65:66]
	v_add_f64 v[26:27], v[65:66], v[26:27]
	s_clause 0x5
	buffer_load_dword v65, off, s[64:67], 0 offset:200
	buffer_load_dword v66, off, s[64:67], 0 offset:204
	;; [unrolled: 1-line block ×6, first 2 shown]
	s_waitcnt vmcnt(4)
	v_fma_f64 v[65:66], v[81:82], s[12:13], -v[65:66]
	s_waitcnt vmcnt(2)
	v_fma_f64 v[67:68], v[164:165], s[12:13], v[67:68]
	s_waitcnt vmcnt(0)
	v_add_f64 v[57:58], v[57:58], v[61:62]
	s_clause 0x1
	buffer_load_dword v61, off, s[64:67], 0 offset:368
	buffer_load_dword v62, off, s[64:67], 0 offset:372
	v_mul_f64 v[81:82], v[22:23], v[6:7]
	v_add_f64 v[55:56], v[65:66], v[55:56]
	v_add_f64 v[31:32], v[67:68], v[31:32]
	s_waitcnt vmcnt(0)
	v_add_f64 v[59:60], v[59:60], v[61:62]
	s_clause 0x1
	buffer_load_dword v61, off, s[64:67], 0 offset:512
	buffer_load_dword v62, off, s[64:67], 0 offset:516
	s_waitcnt vmcnt(0)
	v_fma_f64 v[61:62], v[182:183], s[16:17], v[61:62]
	v_add_f64 v[26:27], v[61:62], v[26:27]
	s_clause 0x5
	buffer_load_dword v61, off, s[64:67], 0 offset:216
	buffer_load_dword v62, off, s[64:67], 0 offset:220
	;; [unrolled: 1-line block ×6, first 2 shown]
	s_waitcnt vmcnt(4)
	v_fma_f64 v[61:62], v[89:90], s[20:21], -v[61:62]
	s_waitcnt vmcnt(2)
	v_fma_f64 v[63:64], v[172:173], s[20:21], v[63:64]
	s_waitcnt vmcnt(0)
	v_add_f64 v[57:58], v[57:58], v[65:66]
	s_clause 0x1
	buffer_load_dword v65, off, s[64:67], 0 offset:312
	buffer_load_dword v66, off, s[64:67], 0 offset:316
	v_add_f64 v[55:56], v[61:62], v[55:56]
	v_add_f64 v[31:32], v[63:64], v[31:32]
	s_waitcnt vmcnt(0)
	v_add_f64 v[59:60], v[59:60], v[65:66]
	s_clause 0x1
	buffer_load_dword v65, off, s[64:67], 0 offset:504
	buffer_load_dword v66, off, s[64:67], 0 offset:508
	s_waitcnt vmcnt(0)
	v_fma_f64 v[65:66], v[190:191], s[22:23], v[65:66]
	v_add_f64 v[26:27], v[65:66], v[26:27]
	s_clause 0x5
	buffer_load_dword v65, off, s[64:67], 0 offset:232
	buffer_load_dword v66, off, s[64:67], 0 offset:236
	;; [unrolled: 1-line block ×6, first 2 shown]
	s_waitcnt vmcnt(4)
	v_fma_f64 v[65:66], v[162:163], s[22:23], -v[65:66]
	s_waitcnt vmcnt(2)
	v_fma_f64 v[67:68], v[182:183], s[22:23], v[67:68]
	s_waitcnt vmcnt(0)
	v_add_f64 v[57:58], v[57:58], v[61:62]
	s_clause 0x1
	buffer_load_dword v61, off, s[64:67], 0 offset:208
	buffer_load_dword v62, off, s[64:67], 0 offset:212
	v_add_f64 v[55:56], v[65:66], v[55:56]
	v_add_f64 v[31:32], v[67:68], v[31:32]
	s_waitcnt vmcnt(0)
	v_add_f64 v[59:60], v[59:60], v[61:62]
	s_clause 0x1
	buffer_load_dword v61, off, s[64:67], 0 offset:496
	buffer_load_dword v62, off, s[64:67], 0 offset:500
	s_waitcnt vmcnt(0)
	v_fma_f64 v[61:62], v[178:179], s[12:13], -v[61:62]
	v_add_f64 v[53:54], v[61:62], v[53:54]
	s_clause 0x5
	buffer_load_dword v61, off, s[64:67], 0 offset:256
	buffer_load_dword v62, off, s[64:67], 0 offset:260
	buffer_load_dword v63, off, s[64:67], 0 offset:288
	buffer_load_dword v64, off, s[64:67], 0 offset:292
	buffer_load_dword v65, off, s[64:67], 0 offset:176
	buffer_load_dword v66, off, s[64:67], 0 offset:180
	s_waitcnt vmcnt(4)
	v_fma_f64 v[61:62], v[170:171], s[18:19], -v[61:62]
	s_waitcnt vmcnt(2)
	v_fma_f64 v[63:64], v[190:191], s[18:19], v[63:64]
	s_waitcnt vmcnt(0)
	v_add_f64 v[57:58], v[57:58], v[65:66]
	s_clause 0x1
	buffer_load_dword v65, off, s[64:67], 0 offset:168
	buffer_load_dword v66, off, s[64:67], 0 offset:172
	v_add_f64 v[55:56], v[61:62], v[55:56]
	v_add_f64 v[31:32], v[63:64], v[31:32]
	s_waitcnt vmcnt(0)
	v_add_f64 v[59:60], v[59:60], v[65:66]
	s_clause 0x1
	buffer_load_dword v65, off, s[64:67], 0 offset:488
	buffer_load_dword v66, off, s[64:67], 0 offset:492
	s_waitcnt vmcnt(0)
	v_fma_f64 v[65:66], v[194:195], s[12:13], v[65:66]
	v_add_f64 v[26:27], v[65:66], v[26:27]
	s_clause 0x5
	buffer_load_dword v65, off, s[64:67], 0 offset:264
	buffer_load_dword v66, off, s[64:67], 0 offset:268
	buffer_load_dword v67, off, s[64:67], 0 offset:296
	buffer_load_dword v68, off, s[64:67], 0 offset:300
	buffer_load_dword v61, off, s[64:67], 0 offset:160
	buffer_load_dword v62, off, s[64:67], 0 offset:164
	s_waitcnt vmcnt(4)
	v_fma_f64 v[65:66], v[178:179], s[16:17], -v[65:66]
	s_waitcnt vmcnt(2)
	v_fma_f64 v[67:68], v[194:195], s[16:17], v[67:68]
	s_waitcnt vmcnt(0)
	v_add_f64 v[57:58], v[57:58], v[61:62]
	s_clause 0x1
	buffer_load_dword v61, off, s[64:67], 0 offset:152
	buffer_load_dword v62, off, s[64:67], 0 offset:156
	v_add_f64 v[55:56], v[65:66], v[55:56]
	v_add_f64 v[31:32], v[67:68], v[31:32]
	s_waitcnt vmcnt(0)
	v_add_f64 v[59:60], v[59:60], v[61:62]
	s_clause 0x1
	buffer_load_dword v61, off, s[64:67], 0 offset:472
	buffer_load_dword v62, off, s[64:67], 0 offset:476
	s_waitcnt vmcnt(0)
	v_fma_f64 v[61:62], v[180:181], s[10:11], v[61:62]
	v_add_f64 v[26:27], v[61:62], v[26:27]
	s_clause 0x13
	buffer_load_dword v61, off, s[64:67], 0 offset:480
	buffer_load_dword v62, off, s[64:67], 0 offset:484
	;; [unrolled: 1-line block ×20, first 2 shown]
	s_waitcnt vmcnt(18)
	v_fma_f64 v[61:62], v[198:199], s[10:11], -v[61:62]
	s_waitcnt vmcnt(16)
	v_fma_f64 v[63:64], v[198:199], s[14:15], -v[63:64]
	s_waitcnt vmcnt(14)
	v_fma_f64 v[69:70], v[180:181], s[14:15], v[69:70]
	s_waitcnt vmcnt(12)
	v_add_f64 v[57:58], v[57:58], v[67:68]
	s_waitcnt vmcnt(10)
	v_mul_f64 v[67:68], v[85:86], v[202:203]
	s_waitcnt vmcnt(8)
	v_mul_f64 v[65:66], v[75:76], v[220:221]
	s_waitcnt vmcnt(6)
	v_add_f64 v[59:60], v[59:60], v[71:72]
	s_waitcnt vmcnt(4)
	v_mul_f64 v[71:72], v[77:78], v[220:221]
	v_add_f64 v[53:54], v[61:62], v[53:54]
	v_add_f64 v[55:56], v[63:64], v[55:56]
	;; [unrolled: 1-line block ×3, first 2 shown]
	s_waitcnt vmcnt(0)
	v_add_f64 v[57:58], v[57:58], v[79:80]
	v_fma_f64 v[67:68], v[200:201], v[73:74], v[67:68]
	v_fma_f64 v[65:66], v[218:219], v[77:78], v[65:66]
	s_clause 0x1
	buffer_load_dword v77, off, s[64:67], 0 offset:104
	buffer_load_dword v78, off, s[64:67], 0 offset:108
	v_fma_f64 v[71:72], v[218:219], v[75:76], -v[71:72]
	v_mul_f64 v[75:76], v[14:15], v[2:3]
	v_mul_f64 v[73:74], v[73:74], v[202:203]
	;; [unrolled: 1-line block ×6, first 2 shown]
	v_fma_f64 v[73:74], v[200:201], v[85:86], -v[73:74]
	v_mul_f64 v[85:86], v[24:25], v[10:11]
	v_fma_f64 v[6:7], v[35:36], v[8:9], -v[79:80]
	v_fma_f64 v[4:5], v[20:21], v[8:9], v[4:5]
	v_fma_f64 v[8:9], v[22:23], v[12:13], v[83:84]
	v_fma_f64 v[10:11], v[37:38], v[12:13], -v[81:82]
	v_fma_f64 v[12:13], v[24:25], v[16:17], v[87:88]
	v_mul_f64 v[24:25], v[53:54], v[18:19]
	v_fma_f64 v[18:19], v[53:54], v[29:30], -v[61:62]
	v_mul_f64 v[35:36], v[55:56], v[65:66]
	s_waitcnt vmcnt(0)
	v_add_f64 v[59:60], v[59:60], v[77:78]
	v_mul_f64 v[77:78], v[33:34], v[2:3]
	v_mul_u32_u24_sdwa v2, v151, v28 dst_sel:DWORD dst_unused:UNUSED_PAD src0_sel:WORD_0 src1_sel:DWORD
	s_clause 0x1
	buffer_load_dword v3, off, s[64:67], 0 offset:100
	buffer_load_dword v28, off, s[64:67], 0
	v_lshrrev_b32_e32 v2, 16, v2
	v_mul_lo_u16 v2, 0x121, v2
	v_mul_f64 v[67:68], v[59:60], v[67:68]
	s_waitcnt vmcnt(1)
	v_add_nc_u32_sdwa v91, v3, v2 dst_sel:DWORD dst_unused:UNUSED_PAD src0_sel:DWORD src1_sel:WORD_0
	s_waitcnt vmcnt(0)
	v_mad_u64_u32 v[69:70], null, s2, v28, 0
	v_fma_f64 v[2:3], v[33:34], v[0:1], -v[75:76]
	v_fma_f64 v[0:1], v[14:15], v[0:1], v[77:78]
	v_mad_u64_u32 v[89:90], null, s0, v91, 0
	v_mul_f64 v[33:34], v[31:32], v[65:66]
	v_mov_b32_e32 v14, v70
	v_mov_b32_e32 v20, v90
	v_mad_u64_u32 v[21:22], null, s3, v28, v[14:15]
	v_fma_f64 v[14:15], v[39:40], v[16:17], -v[85:86]
	v_fma_f64 v[22:23], v[59:60], v[73:74], -v[63:64]
	v_add_nc_u32_e32 v28, 17, v91
	v_add_nc_u32_e32 v59, 34, v91
	s_lshl_b64 s[2:3], s[6:7], 4
	v_add_nc_u32_e32 v63, 51, v91
	v_mad_u64_u32 v[16:17], null, s1, v91, v[20:21]
	v_mov_b32_e32 v70, v21
	v_mad_u64_u32 v[37:38], null, s0, v28, 0
	v_mad_u64_u32 v[39:40], null, s0, v59, 0
	v_fma_f64 v[20:21], v[57:58], v[73:74], v[67:68]
	v_mov_b32_e32 v90, v16
	v_lshlrev_b64 v[16:17], 4, v[69:70]
	s_add_u32 s2, s4, s2
	s_addc_u32 s3, s5, s3
	v_lshlrev_b64 v[53:54], 4, v[89:90]
	v_add_co_u32 v61, vcc_lo, s2, v16
	v_add_co_ci_u32_e32 v62, vcc_lo, s3, v17, vcc_lo
	v_mov_b32_e32 v16, v38
	v_mov_b32_e32 v17, v40
	v_add_co_u32 v53, vcc_lo, v61, v53
	v_add_co_ci_u32_e32 v54, vcc_lo, v62, v54, vcc_lo
	v_mad_u64_u32 v[57:58], null, s1, v28, v[16:17]
	v_mad_u64_u32 v[58:59], null, s1, v59, v[17:18]
	;; [unrolled: 1-line block ×3, first 2 shown]
	global_store_dwordx4 v[53:54], v[20:23], off
	v_fma_f64 v[16:17], v[26:27], v[29:30], v[24:25]
	v_mov_b32_e32 v38, v57
	v_fma_f64 v[24:25], v[31:32], v[71:72], v[35:36]
	v_mov_b32_e32 v40, v58
	v_add_nc_u32_e32 v35, 0x44, v91
	v_mov_b32_e32 v20, v60
	v_lshlrev_b64 v[21:22], 4, v[37:38]
	v_fma_f64 v[26:27], v[55:56], v[71:72], -v[33:34]
	v_add_nc_u32_e32 v37, 0x55, v91
	v_mad_u64_u32 v[31:32], null, s0, v35, 0
	v_mad_u64_u32 v[28:29], null, s1, v63, v[20:21]
	v_lshlrev_b64 v[29:30], 4, v[39:40]
	v_add_co_u32 v20, vcc_lo, v61, v21
	v_add_co_ci_u32_e32 v21, vcc_lo, v62, v22, vcc_lo
	v_mad_u64_u32 v[33:34], null, s0, v37, 0
	v_mov_b32_e32 v60, v28
	v_add_co_u32 v22, vcc_lo, v61, v29
	v_add_co_ci_u32_e32 v23, vcc_lo, v62, v30, vcc_lo
	v_lshlrev_b64 v[29:30], 4, v[59:60]
	v_mov_b32_e32 v28, v32
	global_store_dwordx4 v[20:21], v[24:27], off
	global_store_dwordx4 v[22:23], v[16:19], off
	v_mov_b32_e32 v18, v34
                                        ; kill: def $vgpr19 killed $sgpr0 killed $exec
	v_add_nc_u32_e32 v20, 0x66, v91
	v_mad_u64_u32 v[35:36], null, s1, v35, v[28:29]
	v_add_co_u32 v16, vcc_lo, v61, v29
	v_add_co_ci_u32_e32 v17, vcc_lo, v62, v30, vcc_lo
	v_mad_u64_u32 v[18:19], null, s1, v37, v[18:19]
	v_mov_b32_e32 v32, v35
	global_store_dwordx4 v[16:17], v[12:15], off
	v_mad_u64_u32 v[12:13], null, s0, v20, 0
	v_add_nc_u32_e32 v21, 0x77, v91
	v_lshlrev_b64 v[14:15], 4, v[31:32]
	v_mov_b32_e32 v34, v18
	v_add_co_u32 v14, vcc_lo, v61, v14
	v_lshlrev_b64 v[16:17], 4, v[33:34]
	v_add_co_ci_u32_e32 v15, vcc_lo, v62, v15, vcc_lo
	v_mad_u64_u32 v[18:19], null, s1, v20, v[13:14]
	v_mad_u64_u32 v[19:20], null, s0, v21, 0
	v_add_co_u32 v16, vcc_lo, v61, v16
	v_add_co_ci_u32_e32 v17, vcc_lo, v62, v17, vcc_lo
	global_store_dwordx4 v[14:15], v[8:11], off
	v_mov_b32_e32 v13, v18
	v_mov_b32_e32 v8, v20
	v_add_nc_u32_e32 v11, 0x88, v91
	global_store_dwordx4 v[16:17], v[4:7], off
	v_add_nc_u32_e32 v14, 0xbb, v91
	v_lshlrev_b64 v[4:5], 4, v[12:13]
	v_mad_u64_u32 v[6:7], null, s1, v21, v[8:9]
	v_mad_u64_u32 v[7:8], null, s0, v11, 0
	v_add_nc_u32_e32 v12, 0x99, v91
	v_add_co_u32 v4, vcc_lo, v61, v4
	v_add_co_ci_u32_e32 v5, vcc_lo, v62, v5, vcc_lo
	v_mov_b32_e32 v20, v6
	v_mad_u64_u32 v[9:10], null, s0, v12, 0
	v_mov_b32_e32 v6, v8
	v_add_nc_u32_e32 v13, 0xaa, v91
	global_store_dwordx4 v[4:5], v[0:3], off
	v_lshlrev_b64 v[0:1], 4, v[19:20]
	v_mad_u64_u32 v[2:3], null, s1, v11, v[6:7]
	v_mad_u64_u32 v[4:5], null, s0, v13, 0
	v_mov_b32_e32 v3, v10
	v_add_co_u32 v0, vcc_lo, v61, v0
	v_add_co_ci_u32_e32 v1, vcc_lo, v62, v1, vcc_lo
	v_mov_b32_e32 v8, v2
	v_mad_u64_u32 v[2:3], null, s1, v12, v[3:4]
	v_mad_u64_u32 v[11:12], null, s0, v14, 0
	v_mov_b32_e32 v3, v5
	global_store_dwordx4 v[0:1], v[49:52], off
	v_lshlrev_b64 v[0:1], 4, v[7:8]
	v_mov_b32_e32 v10, v2
	v_mad_u64_u32 v[5:6], null, s1, v13, v[3:4]
	v_mov_b32_e32 v2, v12
                                        ; kill: def $vgpr3 killed $sgpr0 killed $exec
	v_add_co_u32 v0, vcc_lo, v61, v0
	v_add_co_ci_u32_e32 v1, vcc_lo, v62, v1, vcc_lo
	v_mad_u64_u32 v[2:3], null, s1, v14, v[2:3]
	v_lshlrev_b64 v[6:7], 4, v[9:10]
	global_store_dwordx4 v[0:1], v[45:48], off
	v_lshlrev_b64 v[0:1], 4, v[4:5]
	v_add_nc_u32_e32 v9, 0xcc, v91
	v_add_nc_u32_e32 v10, 0xdd, v91
	;; [unrolled: 1-line block ×3, first 2 shown]
	v_mov_b32_e32 v12, v2
	v_add_co_u32 v3, vcc_lo, v61, v6
	v_add_co_ci_u32_e32 v4, vcc_lo, v62, v7, vcc_lo
	v_add_co_u32 v0, vcc_lo, v61, v0
	v_lshlrev_b64 v[7:8], 4, v[11:12]
	v_add_co_ci_u32_e32 v1, vcc_lo, v62, v1, vcc_lo
	global_store_dwordx4 v[3:4], v[41:44], off
	global_store_dwordx4 v[0:1], v[174:177], off
	v_add_co_u32 v1, vcc_lo, v61, v7
	v_add_co_ci_u32_e32 v2, vcc_lo, v62, v8, vcc_lo
	v_mad_u64_u32 v[5:6], null, s0, v9, 0
	v_mad_u64_u32 v[7:8], null, s0, v10, 0
	global_store_dwordx4 v[1:2], v[186:189], off
	s_clause 0x3
	buffer_load_dword v14, off, s[64:67], 0 offset:68
	buffer_load_dword v15, off, s[64:67], 0 offset:72
	;; [unrolled: 1-line block ×4, first 2 shown]
	v_add_nc_u32_e32 v12, 0xff, v91
	v_add_nc_u32_e32 v11, 0xee, v91
	v_mov_b32_e32 v0, v6
	v_mov_b32_e32 v2, v8
	v_mad_u64_u32 v[3:4], null, s1, v9, v[0:1]
	v_mad_u64_u32 v[0:1], null, s0, v11, 0
	v_mov_b32_e32 v6, v3
	v_mad_u64_u32 v[3:4], null, s0, v12, 0
	v_lshlrev_b64 v[5:6], 4, v[5:6]
	v_mad_u64_u32 v[8:9], null, s1, v10, v[2:3]
	v_mad_u64_u32 v[9:10], null, s0, v13, 0
	;; [unrolled: 1-line block ×3, first 2 shown]
	v_mov_b32_e32 v2, v4
	v_add_co_u32 v4, vcc_lo, v61, v5
	v_add_co_ci_u32_e32 v5, vcc_lo, v62, v6, vcc_lo
	v_mad_u64_u32 v[11:12], null, s1, v12, v[2:3]
	v_mov_b32_e32 v2, v10
	v_lshlrev_b64 v[0:1], 4, v[0:1]
	s_waitcnt vmcnt(0)
	global_store_dwordx4 v[4:5], v[14:17], off
	v_lshlrev_b64 v[5:6], 4, v[7:8]
	v_mad_u64_u32 v[7:8], null, s1, v13, v[2:3]
	v_mov_b32_e32 v4, v11
	v_add_co_u32 v5, vcc_lo, v61, v5
	v_add_co_ci_u32_e32 v6, vcc_lo, v62, v6, vcc_lo
	v_mov_b32_e32 v10, v7
	v_add_co_u32 v0, vcc_lo, v61, v0
	v_add_co_ci_u32_e32 v1, vcc_lo, v62, v1, vcc_lo
	v_lshlrev_b64 v[7:8], 4, v[9:10]
	s_clause 0x3
	buffer_load_dword v9, off, s[64:67], 0 offset:52
	buffer_load_dword v10, off, s[64:67], 0 offset:56
	;; [unrolled: 1-line block ×4, first 2 shown]
	v_lshlrev_b64 v[2:3], 4, v[3:4]
	v_add_co_u32 v2, vcc_lo, v61, v2
	v_add_co_ci_u32_e32 v3, vcc_lo, v62, v3, vcc_lo
	v_add_co_u32 v7, vcc_lo, v61, v7
	v_add_co_ci_u32_e32 v8, vcc_lo, v62, v8, vcc_lo
	s_waitcnt vmcnt(0)
	global_store_dwordx4 v[5:6], v[9:12], off
	s_clause 0x3
	buffer_load_dword v9, off, s[64:67], 0 offset:36
	buffer_load_dword v10, off, s[64:67], 0 offset:40
	buffer_load_dword v11, off, s[64:67], 0 offset:44
	buffer_load_dword v12, off, s[64:67], 0 offset:48
	s_waitcnt vmcnt(0)
	global_store_dwordx4 v[0:1], v[9:12], off
	s_clause 0x3
	buffer_load_dword v9, off, s[64:67], 0 offset:20
	buffer_load_dword v10, off, s[64:67], 0 offset:24
	buffer_load_dword v11, off, s[64:67], 0 offset:28
	buffer_load_dword v12, off, s[64:67], 0 offset:32
	s_waitcnt vmcnt(0)
	global_store_dwordx4 v[2:3], v[9:12], off
	s_clause 0x3
	buffer_load_dword v0, off, s[64:67], 0 offset:4
	buffer_load_dword v1, off, s[64:67], 0 offset:8
	buffer_load_dword v2, off, s[64:67], 0 offset:12
	buffer_load_dword v3, off, s[64:67], 0 offset:16
	s_waitcnt vmcnt(0)
	global_store_dwordx4 v[7:8], v[0:3], off
.LBB0_16:
	s_endpgm
	.section	.rodata,"a",@progbits
	.p2align	6, 0x0
	.amdhsa_kernel fft_rtc_back_len289_factors_17_17_wgs_119_tpt_17_dp_ip_CI_sbcc_twdbase8_3step_dirReg
		.amdhsa_group_segment_fixed_size 0
		.amdhsa_private_segment_fixed_size 876
		.amdhsa_kernarg_size 96
		.amdhsa_user_sgpr_count 6
		.amdhsa_user_sgpr_private_segment_buffer 1
		.amdhsa_user_sgpr_dispatch_ptr 0
		.amdhsa_user_sgpr_queue_ptr 0
		.amdhsa_user_sgpr_kernarg_segment_ptr 1
		.amdhsa_user_sgpr_dispatch_id 0
		.amdhsa_user_sgpr_flat_scratch_init 0
		.amdhsa_user_sgpr_private_segment_size 0
		.amdhsa_wavefront_size32 1
		.amdhsa_uses_dynamic_stack 0
		.amdhsa_system_sgpr_private_segment_wavefront_offset 1
		.amdhsa_system_sgpr_workgroup_id_x 1
		.amdhsa_system_sgpr_workgroup_id_y 0
		.amdhsa_system_sgpr_workgroup_id_z 0
		.amdhsa_system_sgpr_workgroup_info 0
		.amdhsa_system_vgpr_workitem_id 0
		.amdhsa_next_free_vgpr 256
		.amdhsa_next_free_sgpr 68
		.amdhsa_reserve_vcc 1
		.amdhsa_reserve_flat_scratch 0
		.amdhsa_float_round_mode_32 0
		.amdhsa_float_round_mode_16_64 0
		.amdhsa_float_denorm_mode_32 3
		.amdhsa_float_denorm_mode_16_64 3
		.amdhsa_dx10_clamp 1
		.amdhsa_ieee_mode 1
		.amdhsa_fp16_overflow 0
		.amdhsa_workgroup_processor_mode 1
		.amdhsa_memory_ordered 1
		.amdhsa_forward_progress 0
		.amdhsa_shared_vgpr_count 0
		.amdhsa_exception_fp_ieee_invalid_op 0
		.amdhsa_exception_fp_denorm_src 0
		.amdhsa_exception_fp_ieee_div_zero 0
		.amdhsa_exception_fp_ieee_overflow 0
		.amdhsa_exception_fp_ieee_underflow 0
		.amdhsa_exception_fp_ieee_inexact 0
		.amdhsa_exception_int_div_zero 0
	.end_amdhsa_kernel
	.text
.Lfunc_end0:
	.size	fft_rtc_back_len289_factors_17_17_wgs_119_tpt_17_dp_ip_CI_sbcc_twdbase8_3step_dirReg, .Lfunc_end0-fft_rtc_back_len289_factors_17_17_wgs_119_tpt_17_dp_ip_CI_sbcc_twdbase8_3step_dirReg
                                        ; -- End function
	.section	.AMDGPU.csdata,"",@progbits
; Kernel info:
; codeLenInByte = 24024
; NumSgprs: 70
; NumVgprs: 256
; ScratchSize: 876
; MemoryBound: 1
; FloatMode: 240
; IeeeMode: 1
; LDSByteSize: 0 bytes/workgroup (compile time only)
; SGPRBlocks: 8
; VGPRBlocks: 31
; NumSGPRsForWavesPerEU: 70
; NumVGPRsForWavesPerEU: 256
; Occupancy: 4
; WaveLimiterHint : 1
; COMPUTE_PGM_RSRC2:SCRATCH_EN: 1
; COMPUTE_PGM_RSRC2:USER_SGPR: 6
; COMPUTE_PGM_RSRC2:TRAP_HANDLER: 0
; COMPUTE_PGM_RSRC2:TGID_X_EN: 1
; COMPUTE_PGM_RSRC2:TGID_Y_EN: 0
; COMPUTE_PGM_RSRC2:TGID_Z_EN: 0
; COMPUTE_PGM_RSRC2:TIDIG_COMP_CNT: 0
	.text
	.p2alignl 6, 3214868480
	.fill 48, 4, 3214868480
	.type	__hip_cuid_9ae043e2157473b8,@object ; @__hip_cuid_9ae043e2157473b8
	.section	.bss,"aw",@nobits
	.globl	__hip_cuid_9ae043e2157473b8
__hip_cuid_9ae043e2157473b8:
	.byte	0                               ; 0x0
	.size	__hip_cuid_9ae043e2157473b8, 1

	.ident	"AMD clang version 19.0.0git (https://github.com/RadeonOpenCompute/llvm-project roc-6.4.0 25133 c7fe45cf4b819c5991fe208aaa96edf142730f1d)"
	.section	".note.GNU-stack","",@progbits
	.addrsig
	.addrsig_sym __hip_cuid_9ae043e2157473b8
	.amdgpu_metadata
---
amdhsa.kernels:
  - .args:
      - .actual_access:  read_only
        .address_space:  global
        .offset:         0
        .size:           8
        .value_kind:     global_buffer
      - .address_space:  global
        .offset:         8
        .size:           8
        .value_kind:     global_buffer
      - .offset:         16
        .size:           8
        .value_kind:     by_value
      - .actual_access:  read_only
        .address_space:  global
        .offset:         24
        .size:           8
        .value_kind:     global_buffer
      - .actual_access:  read_only
        .address_space:  global
        .offset:         32
        .size:           8
        .value_kind:     global_buffer
      - .offset:         40
        .size:           8
        .value_kind:     by_value
      - .actual_access:  read_only
        .address_space:  global
        .offset:         48
        .size:           8
        .value_kind:     global_buffer
      - .actual_access:  read_only
        .address_space:  global
        .offset:         56
        .size:           8
        .value_kind:     global_buffer
      - .offset:         64
        .size:           4
        .value_kind:     by_value
      - .actual_access:  read_only
        .address_space:  global
        .offset:         72
        .size:           8
        .value_kind:     global_buffer
      - .actual_access:  read_only
        .address_space:  global
        .offset:         80
        .size:           8
        .value_kind:     global_buffer
      - .address_space:  global
        .offset:         88
        .size:           8
        .value_kind:     global_buffer
    .group_segment_fixed_size: 0
    .kernarg_segment_align: 8
    .kernarg_segment_size: 96
    .language:       OpenCL C
    .language_version:
      - 2
      - 0
    .max_flat_workgroup_size: 119
    .name:           fft_rtc_back_len289_factors_17_17_wgs_119_tpt_17_dp_ip_CI_sbcc_twdbase8_3step_dirReg
    .private_segment_fixed_size: 876
    .sgpr_count:     70
    .sgpr_spill_count: 0
    .symbol:         fft_rtc_back_len289_factors_17_17_wgs_119_tpt_17_dp_ip_CI_sbcc_twdbase8_3step_dirReg.kd
    .uniform_work_group_size: 1
    .uses_dynamic_stack: false
    .vgpr_count:     256
    .vgpr_spill_count: 220
    .wavefront_size: 32
    .workgroup_processor_mode: 1
amdhsa.target:   amdgcn-amd-amdhsa--gfx1030
amdhsa.version:
  - 1
  - 2
...

	.end_amdgpu_metadata
